;; amdgpu-corpus repo=ROCm/rocFFT kind=compiled arch=gfx906 opt=O3
	.text
	.amdgcn_target "amdgcn-amd-amdhsa--gfx906"
	.amdhsa_code_object_version 6
	.protected	bluestein_single_back_len1386_dim1_dp_op_CI_CI ; -- Begin function bluestein_single_back_len1386_dim1_dp_op_CI_CI
	.globl	bluestein_single_back_len1386_dim1_dp_op_CI_CI
	.p2align	8
	.type	bluestein_single_back_len1386_dim1_dp_op_CI_CI,@function
bluestein_single_back_len1386_dim1_dp_op_CI_CI: ; @bluestein_single_back_len1386_dim1_dp_op_CI_CI
; %bb.0:
	s_load_dwordx4 s[16:19], s[4:5], 0x28
	s_mov_b64 s[42:43], s[2:3]
	v_mul_u32_u24_e32 v1, 0x11c, v0
	s_mov_b64 s[40:41], s[0:1]
	v_add_u32_sdwa v197, s6, v1 dst_sel:DWORD dst_unused:UNUSED_PAD src0_sel:DWORD src1_sel:WORD_1
	v_mov_b32_e32 v198, 0
	s_add_u32 s40, s40, s7
	s_waitcnt lgkmcnt(0)
	v_cmp_gt_u64_e32 vcc, s[16:17], v[197:198]
	s_addc_u32 s41, s41, 0
	s_and_saveexec_b64 s[0:1], vcc
	s_cbranch_execz .LBB0_18
; %bb.1:
	s_load_dwordx4 s[0:3], s[4:5], 0x18
	s_load_dwordx4 s[12:15], s[4:5], 0x0
                                        ; implicit-def: $vgpr72_vgpr73
	s_waitcnt lgkmcnt(0)
	s_load_dwordx4 s[8:11], s[0:1], 0x0
	s_movk_i32 s0, 0xe7
	v_mul_lo_u16_sdwa v1, v1, s0 dst_sel:DWORD dst_unused:UNUSED_PAD src0_sel:WORD_1 src1_sel:DWORD
	v_sub_u16_e32 v198, v0, v1
	v_lshlrev_b32_e32 v255, 4, v198
	s_waitcnt lgkmcnt(0)
	v_mad_u64_u32 v[0:1], s[6:7], s10, v197, 0
	v_mad_u64_u32 v[2:3], s[6:7], s8, v198, 0
	s_mul_i32 s1, s9, 0x2b50
	s_mul_i32 s10, s8, 0x2b50
	v_mad_u64_u32 v[4:5], s[6:7], s11, v197, v[1:2]
	s_movk_i32 s11, 0x3000
	v_lshlrev_b32_e32 v206, 5, v198
	v_mad_u64_u32 v[5:6], s[6:7], s9, v198, v[3:4]
	v_mov_b32_e32 v1, v4
	v_lshlrev_b64 v[0:1], 4, v[0:1]
	v_mov_b32_e32 v6, s19
	v_mov_b32_e32 v3, v5
	v_add_co_u32_e32 v4, vcc, s18, v0
	v_addc_co_u32_e32 v5, vcc, v6, v1, vcc
	v_lshlrev_b64 v[0:1], 4, v[2:3]
	v_mov_b32_e32 v2, s13
	v_add_co_u32_e32 v0, vcc, v4, v0
	v_addc_co_u32_e32 v1, vcc, v5, v1, vcc
	v_add_co_u32_e32 v4, vcc, s12, v255
	s_mul_hi_u32 s6, s8, 0x2b50
	v_addc_co_u32_e32 v5, vcc, 0, v2, vcc
	s_add_i32 s1, s6, s1
	v_mov_b32_e32 v3, s1
	v_add_co_u32_e32 v2, vcc, s10, v0
	v_addc_co_u32_e32 v3, vcc, v1, v3, vcc
	s_movk_i32 s6, 0x2000
	global_load_dwordx4 v[24:27], v[0:1], off
	global_load_dwordx4 v[28:31], v[2:3], off
	v_add_co_u32_e32 v0, vcc, s6, v4
	v_addc_co_u32_e32 v1, vcc, 0, v5, vcc
	global_load_dwordx4 v[12:15], v[0:1], off offset:2896
	global_load_dwordx4 v[68:71], v255, s[12:13]
	global_load_dwordx4 v[20:23], v255, s[12:13] offset:3696
	v_mov_b32_e32 v6, 0xffffe320
	v_mad_u64_u32 v[8:9], s[6:7], s8, v6, v[2:3]
	s_mul_i32 s6, s9, 0xffffe320
	s_sub_i32 s9, s6, s8
	v_add_u32_e32 v9, s9, v9
	v_mov_b32_e32 v0, s1
	v_add_co_u32_e32 v10, vcc, s10, v8
	v_addc_co_u32_e32 v11, vcc, v9, v0, vcc
	v_mad_u64_u32 v[16:17], s[6:7], s8, v6, v[10:11]
	v_add_co_u32_e32 v18, vcc, s11, v4
	v_addc_co_u32_e32 v19, vcc, 0, v5, vcc
	s_movk_i32 s6, 0x1000
	v_add_co_u32_e32 v44, vcc, s6, v4
	v_addc_co_u32_e32 v45, vcc, 0, v5, vcc
	v_add_u32_e32 v17, s9, v17
	v_add_co_u32_e32 v48, vcc, s10, v16
	v_addc_co_u32_e32 v49, vcc, v17, v0, vcc
	s_movk_i32 s1, 0x4000
	global_load_dwordx4 v[32:35], v[10:11], off
	global_load_dwordx4 v[36:39], v[8:9], off
	;; [unrolled: 1-line block ×3, first 2 shown]
	v_add_co_u32_e32 v50, vcc, s1, v4
	global_load_dwordx4 v[6:9], v[18:19], off offset:2496
	global_load_dwordx4 v[64:67], v[44:45], off offset:3296
	v_addc_co_u32_e32 v51, vcc, 0, v5, vcc
	global_load_dwordx4 v[0:3], v[50:51], off offset:2096
	global_load_dwordx4 v[44:47], v[48:49], off
	v_add_co_u32_e32 v100, vcc, s0, v198
	s_movk_i32 s0, 0xc6
	v_cmp_gt_u16_e32 vcc, s0, v198
	s_waitcnt vmcnt(8)
	v_mul_f64 v[48:49], v[26:27], v[70:71]
	v_mul_f64 v[52:53], v[30:31], v[14:15]
	;; [unrolled: 1-line block ×4, first 2 shown]
	v_fma_f64 v[24:25], v[24:25], v[68:69], v[48:49]
	buffer_store_dword v68, off, s[40:43], 0 offset:80 ; 4-byte Folded Spill
	s_nop 0
	buffer_store_dword v69, off, s[40:43], 0 offset:84 ; 4-byte Folded Spill
	buffer_store_dword v70, off, s[40:43], 0 offset:88 ; 4-byte Folded Spill
	;; [unrolled: 1-line block ×3, first 2 shown]
	v_fma_f64 v[28:29], v[28:29], v[12:13], v[52:53]
	buffer_store_dword v12, off, s[40:43], 0 ; 4-byte Folded Spill
	s_nop 0
	buffer_store_dword v13, off, s[40:43], 0 offset:4 ; 4-byte Folded Spill
	buffer_store_dword v14, off, s[40:43], 0 offset:8 ; 4-byte Folded Spill
	;; [unrolled: 1-line block ×3, first 2 shown]
	s_waitcnt vmcnt(13)
	v_mul_f64 v[56:57], v[38:39], v[22:23]
	v_mul_f64 v[58:59], v[36:37], v[22:23]
	s_waitcnt vmcnt(11)
	v_mul_f64 v[60:61], v[34:35], v[8:9]
	s_waitcnt vmcnt(10)
	v_mul_f64 v[48:49], v[42:43], v[66:67]
	v_mul_f64 v[62:63], v[32:33], v[8:9]
	s_waitcnt vmcnt(8)
	v_mul_f64 v[52:53], v[46:47], v[2:3]
	v_fma_f64 v[36:37], v[36:37], v[20:21], v[56:57]
	buffer_store_dword v20, off, s[40:43], 0 offset:16 ; 4-byte Folded Spill
	s_nop 0
	buffer_store_dword v21, off, s[40:43], 0 offset:20 ; 4-byte Folded Spill
	buffer_store_dword v22, off, s[40:43], 0 offset:24 ; 4-byte Folded Spill
	;; [unrolled: 1-line block ×3, first 2 shown]
	v_fma_f64 v[32:33], v[32:33], v[6:7], v[60:61]
	buffer_store_dword v6, off, s[40:43], 0 offset:32 ; 4-byte Folded Spill
	s_nop 0
	buffer_store_dword v7, off, s[40:43], 0 offset:36 ; 4-byte Folded Spill
	buffer_store_dword v8, off, s[40:43], 0 offset:40 ; 4-byte Folded Spill
	;; [unrolled: 1-line block ×3, first 2 shown]
	v_fma_f64 v[26:27], v[26:27], v[68:69], -v[50:51]
	v_mul_f64 v[50:51], v[40:41], v[66:67]
	v_fma_f64 v[40:41], v[40:41], v[64:65], v[48:49]
	buffer_store_dword v64, off, s[40:43], 0 offset:48 ; 4-byte Folded Spill
	s_nop 0
	buffer_store_dword v65, off, s[40:43], 0 offset:52 ; 4-byte Folded Spill
	buffer_store_dword v66, off, s[40:43], 0 offset:56 ; 4-byte Folded Spill
	buffer_store_dword v67, off, s[40:43], 0 offset:60 ; 4-byte Folded Spill
	v_fma_f64 v[30:31], v[30:31], v[12:13], -v[54:55]
	v_mul_f64 v[54:55], v[44:45], v[2:3]
	v_fma_f64 v[44:45], v[44:45], v[0:1], v[52:53]
	buffer_store_dword v0, off, s[40:43], 0 offset:64 ; 4-byte Folded Spill
	s_nop 0
	buffer_store_dword v1, off, s[40:43], 0 offset:68 ; 4-byte Folded Spill
	buffer_store_dword v2, off, s[40:43], 0 offset:72 ; 4-byte Folded Spill
	;; [unrolled: 1-line block ×3, first 2 shown]
	s_load_dwordx2 s[6:7], s[4:5], 0x38
	s_load_dwordx4 s[8:11], s[2:3], 0x0
	v_fma_f64 v[38:39], v[38:39], v[20:21], -v[58:59]
	v_fma_f64 v[34:35], v[34:35], v[6:7], -v[62:63]
	;; [unrolled: 1-line block ×4, first 2 shown]
	ds_write_b128 v255, v[24:27]
	ds_write_b128 v255, v[28:31] offset:11088
	ds_write_b128 v255, v[36:39] offset:3696
	;; [unrolled: 1-line block ×5, first 2 shown]
	s_waitcnt vmcnt(0) lgkmcnt(0)
	s_barrier
	ds_read_b128 v[24:27], v255 offset:11088
	ds_read_b128 v[28:31], v255
	ds_read_b128 v[32:35], v255 offset:3696
	ds_read_b128 v[36:39], v255 offset:7392
	;; [unrolled: 1-line block ×4, first 2 shown]
	s_waitcnt lgkmcnt(4)
	v_add_f64 v[52:53], v[28:29], -v[24:25]
	v_add_f64 v[54:55], v[30:31], -v[26:27]
	v_lshlrev_b32_e32 v0, 5, v100
	s_waitcnt lgkmcnt(1)
	v_add_f64 v[56:57], v[32:33], -v[40:41]
	v_add_f64 v[58:59], v[34:35], -v[42:43]
	s_waitcnt lgkmcnt(0)
	v_add_f64 v[64:65], v[36:37], -v[44:45]
	v_add_f64 v[66:67], v[38:39], -v[46:47]
	v_fma_f64 v[48:49], v[28:29], 2.0, -v[52:53]
	v_fma_f64 v[50:51], v[30:31], 2.0, -v[54:55]
	s_barrier
	v_fma_f64 v[60:61], v[32:33], 2.0, -v[56:57]
	v_fma_f64 v[62:63], v[34:35], 2.0, -v[58:59]
	;; [unrolled: 1-line block ×4, first 2 shown]
	ds_write_b128 v206, v[48:51]
	ds_write_b128 v206, v[52:55] offset:16
	buffer_store_dword v0, off, s[40:43], 0 offset:96 ; 4-byte Folded Spill
	ds_write_b128 v0, v[60:63]
	ds_write_b128 v0, v[56:59] offset:16
	ds_write_b128 v206, v[68:71] offset:14784
	;; [unrolled: 1-line block ×3, first 2 shown]
	s_waitcnt vmcnt(0) lgkmcnt(0)
	s_barrier
	s_and_saveexec_b64 s[0:1], vcc
	s_cbranch_execz .LBB0_3
; %bb.2:
	ds_read_b128 v[48:51], v255
	ds_read_b128 v[52:55], v255 offset:3168
	ds_read_b128 v[60:63], v255 offset:6336
	;; [unrolled: 1-line block ×6, first 2 shown]
.LBB0_3:
	s_or_b64 exec, exec, s[0:1]
	v_and_b32_e32 v205, 1, v198
	v_mul_u32_u24_e32 v0, 6, v205
	v_lshlrev_b32_e32 v0, 4, v0
	global_load_dwordx4 v[36:39], v0, s[14:15]
	global_load_dwordx4 v[32:35], v0, s[14:15] offset:16
	global_load_dwordx4 v[28:31], v0, s[14:15] offset:32
	global_load_dwordx4 v[24:27], v0, s[14:15] offset:48
	global_load_dwordx4 v[40:43], v0, s[14:15] offset:80
	global_load_dwordx4 v[44:47], v0, s[14:15] offset:64
	s_mov_b32 s0, 0x37e14327
	s_mov_b32 s16, 0xb247c609
	;; [unrolled: 1-line block ×10, first 2 shown]
	v_lshrrev_b32_e32 v0, 1, v198
	s_waitcnt vmcnt(0) lgkmcnt(0)
	s_barrier
	buffer_store_dword v0, off, s[40:43], 0 offset:112 ; 4-byte Folded Spill
	v_mul_f64 v[76:77], v[54:55], v[38:39]
	v_mul_f64 v[78:79], v[52:53], v[38:39]
	;; [unrolled: 1-line block ×12, first 2 shown]
	v_fma_f64 v[52:53], v[52:53], v[36:37], -v[76:77]
	v_fma_f64 v[54:55], v[54:55], v[36:37], v[78:79]
	v_fma_f64 v[76:77], v[60:61], v[32:33], -v[80:81]
	v_fma_f64 v[78:79], v[62:63], v[32:33], v[82:83]
	;; [unrolled: 2-line block ×6, first 2 shown]
	v_add_f64 v[60:61], v[52:53], v[62:63]
	v_add_f64 v[70:71], v[54:55], v[72:73]
	;; [unrolled: 1-line block ×4, first 2 shown]
	v_add_f64 v[82:83], v[52:53], -v[62:63]
	v_add_f64 v[62:63], v[54:55], -v[72:73]
	v_add_f64 v[52:53], v[56:57], v[68:69]
	v_add_f64 v[54:55], v[58:59], v[84:85]
	v_add_f64 v[56:57], v[68:69], -v[56:57]
	v_add_f64 v[58:59], v[84:85], -v[58:59]
	v_add_f64 v[68:69], v[64:65], v[60:61]
	v_add_f64 v[72:73], v[74:75], v[70:71]
	v_add_f64 v[86:87], v[76:77], -v[80:81]
	v_add_f64 v[66:67], v[78:79], -v[66:67]
	;; [unrolled: 1-line block ×8, first 2 shown]
	v_add_f64 v[52:53], v[52:53], v[68:69]
	v_add_f64 v[54:55], v[54:55], v[72:73]
	;; [unrolled: 1-line block ×4, first 2 shown]
	v_add_f64 v[92:93], v[56:57], -v[86:87]
	v_add_f64 v[94:95], v[58:59], -v[66:67]
	v_mul_f64 v[76:77], v[76:77], s[0:1]
	v_mul_f64 v[78:79], v[78:79], s[0:1]
	;; [unrolled: 1-line block ×4, first 2 shown]
	v_add_f64 v[48:49], v[48:49], v[52:53]
	v_add_f64 v[50:51], v[50:51], v[54:55]
	;; [unrolled: 1-line block ×4, first 2 shown]
	v_fma_f64 v[58:59], v[88:89], s[2:3], v[76:77]
	v_fma_f64 v[101:102], v[90:91], s[2:3], v[78:79]
	v_fma_f64 v[56:57], v[92:93], s[4:5], v[84:85]
	v_fma_f64 v[103:104], v[94:95], s[4:5], v[80:81]
	v_fma_f64 v[68:69], v[52:53], s[18:19], v[48:49]
	v_fma_f64 v[72:73], v[54:55], s[18:19], v[50:51]
	s_mov_b32 s16, 0x37c3f68c
	s_mov_b32 s17, 0x3fdc38aa
	v_fma_f64 v[56:57], v[96:97], s[16:17], v[56:57]
	v_fma_f64 v[52:53], v[98:99], s[16:17], v[103:104]
	v_add_f64 v[54:55], v[58:59], v[68:69]
	v_add_f64 v[58:59], v[101:102], v[72:73]
	v_add_f64 v[104:105], v[54:55], -v[52:53]
	v_add_f64 v[106:107], v[56:57], v[58:59]
	s_and_saveexec_b64 s[0:1], vcc
	s_cbranch_execz .LBB0_5
; %bb.4:
	v_add_f64 v[70:71], v[74:75], -v[70:71]
	v_add_f64 v[82:83], v[86:87], -v[82:83]
	;; [unrolled: 1-line block ×4, first 2 shown]
	v_mul_f64 v[90:91], v[90:91], s[2:3]
	v_mul_f64 v[86:87], v[92:93], s[4:5]
	;; [unrolled: 1-line block ×3, first 2 shown]
	s_mov_b32 s5, 0xbfe77f67
	s_mov_b32 s4, 0x5476071b
	v_mul_f64 v[88:89], v[88:89], s[2:3]
	v_fma_f64 v[66:67], v[70:71], s[4:5], -v[78:79]
	s_mov_b32 s3, 0xbfebfeb5
	s_mov_b32 s2, 0x429ad128
	v_fma_f64 v[64:65], v[82:83], s[2:3], -v[84:85]
	v_fma_f64 v[74:75], v[60:61], s[4:5], -v[76:77]
	;; [unrolled: 1-line block ×3, first 2 shown]
	s_mov_b32 s5, 0x3fe77f67
	s_mov_b32 s3, 0x3febfeb5
	v_mul_f64 v[96:97], v[96:97], s[16:17]
	v_mul_f64 v[98:99], v[98:99], s[16:17]
	v_fma_f64 v[70:71], v[70:71], s[4:5], -v[90:91]
	v_fma_f64 v[78:79], v[82:83], s[2:3], -v[86:87]
	v_add_f64 v[80:81], v[66:67], v[72:73]
	v_fma_f64 v[60:61], v[60:61], s[4:5], -v[88:89]
	v_fma_f64 v[66:67], v[62:63], s[2:3], -v[92:93]
	v_add_f64 v[82:83], v[74:75], v[68:69]
	v_add_f64 v[64:65], v[96:97], v[64:65]
	;; [unrolled: 1-line block ×5, first 2 shown]
	v_add_f64 v[56:57], v[58:59], -v[56:57]
	v_add_f64 v[78:79], v[60:61], v[68:69]
	v_add_f64 v[84:85], v[98:99], v[66:67]
	v_add_f64 v[54:55], v[52:53], v[54:55]
	v_add_f64 v[74:75], v[80:81], -v[64:65]
	v_add_f64 v[62:63], v[64:65], v[80:81]
	v_lshrrev_b32_e32 v0, 1, v198
	v_add_f64 v[66:67], v[70:71], -v[72:73]
	v_add_f64 v[70:71], v[72:73], v[70:71]
	v_add_f64 v[72:73], v[76:77], v[82:83]
	v_add_f64 v[68:69], v[78:79], -v[84:85]
	v_add_f64 v[64:65], v[84:85], v[78:79]
	v_add_f64 v[60:61], v[82:83], -v[76:77]
	v_mul_u32_u24_e32 v0, 14, v0
	v_or_b32_e32 v0, v0, v205
	v_lshlrev_b32_e32 v0, 4, v0
	ds_write_b128 v0, v[48:51]
	ds_write_b128 v0, v[54:57] offset:32
	ds_write_b128 v0, v[72:75] offset:64
	;; [unrolled: 1-line block ×6, first 2 shown]
.LBB0_5:
	s_or_b64 exec, exec, s[0:1]
	v_lshrrev_b16_e32 v0, 1, v198
	v_lshrrev_b16_e32 v2, 1, v100
	v_and_b32_e32 v48, 0x7f, v0
	v_mul_u32_u24_e32 v2, 0x4925, v2
	v_mul_lo_u16_e32 v0, 0x93, v48
	v_lshrrev_b32_e32 v2, 17, v2
	v_lshrrev_b16_e32 v0, 10, v0
	v_mul_lo_u16_e32 v3, 14, v2
	v_mul_lo_u16_e32 v1, 14, v0
	v_sub_u16_e32 v3, v100, v3
	v_lshlrev_b16_e32 v4, 5, v3
	v_sub_u16_e32 v1, v198, v1
	v_mov_b32_e32 v5, s15
	v_add_co_u32_e64 v49, s[0:1], s14, v4
	v_and_b32_e32 v1, 0xff, v1
	v_addc_co_u32_e64 v50, s[0:1], 0, v5, s[0:1]
	v_lshlrev_b32_e32 v4, 5, v1
	s_waitcnt vmcnt(0) lgkmcnt(0)
	s_barrier
	global_load_dwordx4 v[56:59], v[49:50], off offset:208
	global_load_dwordx4 v[60:63], v[49:50], off offset:192
	global_load_dwordx4 v[68:71], v4, s[14:15] offset:192
	global_load_dwordx4 v[64:67], v4, s[14:15] offset:208
	ds_read_b128 v[49:52], v255
	ds_read_b128 v[72:75], v255 offset:3696
	ds_read_b128 v[76:79], v255 offset:7392
	ds_read_b128 v[80:83], v255 offset:11088
	ds_read_b128 v[84:87], v255 offset:14784
	ds_read_b128 v[88:91], v255 offset:18480
	s_mov_b32 s0, 0xe8584caa
	s_mov_b32 s1, 0x3febb67a
	;; [unrolled: 1-line block ×4, first 2 shown]
	s_movk_i32 s4, 0x7e
	v_mul_u32_u24_e32 v0, 42, v0
	v_mad_legacy_u16 v2, v2, 42, v3
	v_lshlrev_b32_e32 v4, 1, v198
	v_lshlrev_b32_e32 v2, 4, v2
	v_add_lshl_u32 v0, v0, v1, 4
	s_waitcnt vmcnt(0) lgkmcnt(0)
	s_barrier
	s_waitcnt lgkmcnt(0)
                                        ; implicit-def: $vgpr136_vgpr137
                                        ; implicit-def: $vgpr140_vgpr141
                                        ; implicit-def: $vgpr144_vgpr145
	v_mul_f64 v[94:95], v[90:91], v[58:59]
	v_mul_f64 v[53:54], v[82:83], v[62:63]
	;; [unrolled: 1-line block ×8, first 2 shown]
	v_fma_f64 v[53:54], v[80:81], v[60:61], -v[53:54]
	v_fma_f64 v[80:81], v[82:83], v[60:61], v[92:93]
	v_fma_f64 v[82:83], v[88:89], v[56:57], -v[94:95]
	v_fma_f64 v[88:89], v[90:91], v[56:57], v[96:97]
	v_fma_f64 v[76:77], v[76:77], v[68:69], -v[98:99]
	v_fma_f64 v[84:85], v[84:85], v[64:65], -v[102:103]
	v_fma_f64 v[78:79], v[78:79], v[68:69], v[100:101]
	v_fma_f64 v[86:87], v[86:87], v[64:65], v[108:109]
	v_add_f64 v[90:91], v[72:73], v[53:54]
	v_add_f64 v[96:97], v[74:75], v[80:81]
	;; [unrolled: 1-line block ×3, first 2 shown]
	v_add_f64 v[94:95], v[80:81], -v[88:89]
	v_add_f64 v[80:81], v[80:81], v[88:89]
	v_add_f64 v[98:99], v[76:77], v[84:85]
	v_add_f64 v[53:54], v[53:54], -v[82:83]
	v_add_f64 v[100:101], v[78:79], v[86:87]
	v_add_f64 v[102:103], v[49:50], v[76:77]
	v_add_f64 v[112:113], v[78:79], -v[86:87]
	v_add_f64 v[78:79], v[51:52], v[78:79]
	v_add_f64 v[76:77], v[76:77], -v[84:85]
	v_fma_f64 v[72:73], v[92:93], -0.5, v[72:73]
	v_fma_f64 v[49:50], v[98:99], -0.5, v[49:50]
	;; [unrolled: 1-line block ×4, first 2 shown]
	v_add_f64 v[124:125], v[90:91], v[82:83]
	v_add_f64 v[126:127], v[96:97], v[88:89]
	;; [unrolled: 1-line block ×4, first 2 shown]
	v_fma_f64 v[128:129], v[94:95], s[0:1], v[72:73]
	v_fma_f64 v[116:117], v[112:113], s[0:1], v[49:50]
	;; [unrolled: 1-line block ×8, first 2 shown]
	v_cmp_gt_u16_e64 s[0:1], s4, v198
	ds_write_b128 v0, v[108:111]
	ds_write_b128 v0, v[116:119] offset:224
	buffer_store_dword v0, off, s[40:43], 0 offset:104 ; 4-byte Folded Spill
	ds_write_b128 v0, v[120:123] offset:448
	ds_write_b128 v2, v[124:127]
	ds_write_b128 v2, v[128:131] offset:224
	buffer_store_dword v2, off, s[40:43], 0 offset:100 ; 4-byte Folded Spill
                                        ; implicit-def: $vgpr112_vgpr113
	ds_write_b128 v2, v[132:135] offset:448
	s_waitcnt vmcnt(0) lgkmcnt(0)
	s_barrier
	s_and_saveexec_b64 s[2:3], s[0:1]
	s_cbranch_execz .LBB0_7
; %bb.6:
	ds_read_b128 v[108:111], v255
	ds_read_b128 v[116:119], v255 offset:2016
	ds_read_b128 v[120:123], v255 offset:4032
	;; [unrolled: 1-line block ×10, first 2 shown]
.LBB0_7:
	s_or_b64 exec, exec, s[2:3]
	v_mul_lo_u16_e32 v0, 49, v48
	v_lshrrev_b16_e32 v199, 10, v0
	v_mul_lo_u16_e32 v0, 42, v199
	v_sub_u16_e32 v0, v198, v0
	v_mov_b32_e32 v49, s15
	v_and_b32_e32 v200, 0xff, v0
	s_movk_i32 s2, 0xa0
	v_mov_b32_e32 v48, s14
	v_mad_u64_u32 v[84:85], s[2:3], v200, s2, v[48:49]
	global_load_dwordx4 v[52:55], v[84:85], off offset:640
	global_load_dwordx4 v[48:51], v[84:85], off offset:656
	global_load_dwordx4 v[72:75], v[84:85], off offset:672
	global_load_dwordx4 v[76:79], v[84:85], off offset:688
	global_load_dwordx4 v[96:99], v[84:85], off offset:704
	global_load_dwordx4 v[92:95], v[84:85], off offset:720
	global_load_dwordx4 v[88:91], v[84:85], off offset:736
	global_load_dwordx4 v[80:83], v[84:85], off offset:784
	global_load_dwordx4 v[100:103], v[84:85], off offset:752
	s_nop 0
	global_load_dwordx4 v[84:87], v[84:85], off offset:768
	s_mov_b32 s18, 0xf8bb580b
	s_mov_b32 s19, 0xbfe14ced
	;; [unrolled: 1-line block ×26, first 2 shown]
	v_add_u32_e32 v9, 0x39c0, v206
	s_waitcnt vmcnt(9) lgkmcnt(9)
	v_mul_f64 v[150:151], v[116:117], v[54:55]
	v_mul_f64 v[148:149], v[118:119], v[54:55]
	s_waitcnt vmcnt(8) lgkmcnt(8)
	v_mul_f64 v[154:155], v[120:121], v[50:51]
	v_mul_f64 v[152:153], v[122:123], v[50:51]
	s_waitcnt vmcnt(7) lgkmcnt(7)
	v_mul_f64 v[158:159], v[124:125], v[74:75]
	s_waitcnt vmcnt(4) lgkmcnt(4)
	v_mul_f64 v[181:182], v[106:107], v[94:95]
	v_mul_f64 v[183:184], v[104:105], v[94:95]
	s_waitcnt vmcnt(2) lgkmcnt(0)
	v_mul_f64 v[160:161], v[144:145], v[82:83]
	v_mul_f64 v[187:188], v[146:147], v[82:83]
	v_fma_f64 v[175:176], v[118:119], v[52:53], v[150:151]
	s_waitcnt vmcnt(0)
	v_mul_f64 v[118:119], v[140:141], v[86:87]
	v_fma_f64 v[211:212], v[116:117], v[52:53], -v[148:149]
	v_mul_f64 v[116:117], v[142:143], v[86:87]
	v_fma_f64 v[209:210], v[122:123], v[48:49], v[154:155]
	v_mul_f64 v[185:186], v[136:137], v[102:103]
	v_fma_f64 v[0:1], v[146:147], v[80:81], v[160:161]
	v_fma_f64 v[2:3], v[144:145], v[80:81], -v[187:188]
	v_fma_f64 v[164:165], v[120:121], v[48:49], -v[152:153]
	v_fma_f64 v[5:6], v[142:143], v[84:85], v[118:119]
	v_mul_f64 v[189:190], v[138:139], v[102:103]
	v_fma_f64 v[7:8], v[140:141], v[84:85], -v[116:117]
	v_fma_f64 v[162:163], v[126:127], v[72:73], v[158:159]
	v_fma_f64 v[14:15], v[104:105], v[92:93], -v[181:182]
	v_add_f64 v[203:204], v[175:176], -v[0:1]
	v_add_f64 v[187:188], v[211:212], v[2:3]
	v_fma_f64 v[10:11], v[138:139], v[100:101], v[185:186]
	v_add_f64 v[207:208], v[209:210], -v[5:6]
	v_fma_f64 v[12:13], v[136:137], v[100:101], -v[189:190]
	v_add_f64 v[185:186], v[164:165], v[7:8]
	v_mul_f64 v[156:157], v[126:127], v[74:75]
	v_add_f64 v[201:202], v[211:212], -v[2:3]
	v_mul_f64 v[22:23], v[203:204], s[18:19]
	v_add_f64 v[191:192], v[175:176], v[0:1]
	v_add_f64 v[136:137], v[162:163], -v[10:11]
	v_mul_f64 v[173:174], v[207:208], s[16:17]
	v_add_f64 v[138:139], v[164:165], -v[7:8]
	v_mul_f64 v[169:170], v[128:129], v[78:79]
	v_fma_f64 v[160:161], v[124:125], v[72:73], -v[156:157]
	v_mul_f64 v[171:172], v[201:202], s[18:19]
	v_fma_f64 v[104:105], v[187:188], s[4:5], v[22:23]
	v_mul_f64 v[195:196], v[112:113], v[90:91]
	v_fma_f64 v[158:159], v[106:107], v[92:93], v[183:184]
	v_fma_f64 v[116:117], v[185:186], s[2:3], v[173:174]
	v_add_f64 v[189:190], v[209:210], v[5:6]
	v_mul_f64 v[150:151], v[138:139], s[16:17]
	v_add_f64 v[221:222], v[160:161], v[12:13]
	v_add_f64 v[122:123], v[160:161], -v[12:13]
	v_add_f64 v[104:105], v[108:109], v[104:105]
	v_fma_f64 v[106:107], v[191:192], s[4:5], -v[171:172]
	v_mul_f64 v[193:194], v[114:115], v[90:91]
	v_fma_f64 v[156:157], v[130:131], v[76:77], v[169:170]
	v_fma_f64 v[114:115], v[114:115], v[88:89], v[195:196]
	v_fma_f64 v[118:119], v[189:190], s[2:3], -v[150:151]
	v_add_f64 v[229:230], v[162:163], v[10:11]
	v_mul_f64 v[167:168], v[130:131], v[78:79]
	v_add_f64 v[104:105], v[116:117], v[104:105]
	v_mul_f64 v[116:117], v[136:137], s[26:27]
	v_add_f64 v[106:107], v[110:111], v[106:107]
	v_fma_f64 v[112:113], v[112:113], v[88:89], -v[193:194]
	v_add_f64 v[140:141], v[156:157], -v[114:115]
	buffer_store_dword v116, off, s[40:43], 0 offset:116 ; 4-byte Folded Spill
	s_nop 0
	buffer_store_dword v117, off, s[40:43], 0 offset:120 ; 4-byte Folded Spill
	v_add_f64 v[106:107], v[118:119], v[106:107]
	v_fma_f64 v[20:21], v[128:129], v[76:77], -v[167:168]
	v_mul_f64 v[179:180], v[132:133], v[98:99]
	v_add_f64 v[219:220], v[156:157], v[114:115]
	v_mul_f64 v[177:178], v[134:135], v[98:99]
	v_mul_f64 v[118:119], v[207:208], s[28:29]
	;; [unrolled: 1-line block ×5, first 2 shown]
	v_add_f64 v[217:218], v[20:21], v[112:113]
	v_add_f64 v[193:194], v[20:21], -v[112:113]
	v_fma_f64 v[18:19], v[134:135], v[96:97], v[179:180]
	v_fma_f64 v[16:17], v[132:133], v[96:97], -v[177:178]
	v_mul_f64 v[237:238], v[203:204], s[26:27]
	v_mul_f64 v[235:236], v[207:208], s[38:39]
	;; [unrolled: 1-line block ×6, first 2 shown]
	v_add_f64 v[146:147], v[18:19], -v[158:159]
	v_add_f64 v[215:216], v[16:17], v[14:15]
	v_add_f64 v[148:149], v[16:17], -v[14:15]
	v_add_f64 v[227:228], v[18:19], v[158:159]
	v_mul_f64 v[249:250], v[193:194], s[18:19]
	v_mul_f64 v[169:170], v[203:204], s[28:29]
	;; [unrolled: 1-line block ×12, first 2 shown]
	v_fma_f64 v[116:117], v[221:222], s[20:21], v[116:117]
	v_add_f64 v[104:105], v[116:117], v[104:105]
	v_mul_f64 v[116:117], v[122:123], s[26:27]
	buffer_store_dword v116, off, s[40:43], 0 offset:124 ; 4-byte Folded Spill
	s_nop 0
	buffer_store_dword v117, off, s[40:43], 0 offset:128 ; 4-byte Folded Spill
	v_fma_f64 v[116:117], v[229:230], s[20:21], -v[116:117]
	v_add_f64 v[106:107], v[116:117], v[106:107]
	v_mul_f64 v[116:117], v[140:141], s[28:29]
	buffer_store_dword v116, off, s[40:43], 0 offset:132 ; 4-byte Folded Spill
	s_nop 0
	buffer_store_dword v117, off, s[40:43], 0 offset:136 ; 4-byte Folded Spill
	v_fma_f64 v[116:117], v[217:218], s[22:23], v[116:117]
	v_add_f64 v[104:105], v[116:117], v[104:105]
	v_mul_f64 v[116:117], v[193:194], s[28:29]
	buffer_store_dword v116, off, s[40:43], 0 offset:140 ; 4-byte Folded Spill
	s_nop 0
	buffer_store_dword v117, off, s[40:43], 0 offset:144 ; 4-byte Folded Spill
	v_fma_f64 v[116:117], v[219:220], s[22:23], -v[116:117]
	v_add_f64 v[106:107], v[116:117], v[106:107]
	v_mul_f64 v[116:117], v[146:147], s[30:31]
	buffer_store_dword v116, off, s[40:43], 0 offset:148 ; 4-byte Folded Spill
	s_nop 0
	buffer_store_dword v117, off, s[40:43], 0 offset:152 ; 4-byte Folded Spill
	;; [unrolled: 12-line block ×3, first 2 shown]
	buffer_store_dword v118, off, s[40:43], 0 offset:172 ; 4-byte Folded Spill
	s_nop 0
	buffer_store_dword v119, off, s[40:43], 0 offset:176 ; 4-byte Folded Spill
	buffer_store_dword v120, off, s[40:43], 0 offset:180 ; 4-byte Folded Spill
	s_nop 0
	buffer_store_dword v121, off, s[40:43], 0 offset:184 ; 4-byte Folded Spill
	s_mov_b32 s17, 0x3fed1bb4
	v_mul_f64 v[239:240], v[136:137], s[16:17]
	v_mul_f64 v[245:246], v[122:123], s[16:17]
	;; [unrolled: 1-line block ×5, first 2 shown]
	v_fma_f64 v[116:117], v[187:188], s[2:3], v[116:117]
	v_fma_f64 v[118:119], v[185:186], s[22:23], v[118:119]
	v_fma_f64 v[120:121], v[189:190], s[22:23], -v[120:121]
	v_add_f64 v[116:117], v[108:109], v[116:117]
	v_add_f64 v[116:117], v[118:119], v[116:117]
	v_fma_f64 v[118:119], v[191:192], s[2:3], -v[213:214]
	v_add_f64 v[118:119], v[110:111], v[118:119]
	v_add_f64 v[118:119], v[120:121], v[118:119]
	v_mul_f64 v[120:121], v[136:137], s[38:39]
	buffer_store_dword v120, off, s[40:43], 0 offset:188 ; 4-byte Folded Spill
	s_nop 0
	buffer_store_dword v121, off, s[40:43], 0 offset:192 ; 4-byte Folded Spill
	v_fma_f64 v[120:121], v[221:222], s[24:25], v[120:121]
	v_add_f64 v[116:117], v[120:121], v[116:117]
	v_mul_f64 v[120:121], v[122:123], s[38:39]
	buffer_store_dword v120, off, s[40:43], 0 offset:196 ; 4-byte Folded Spill
	s_nop 0
	buffer_store_dword v121, off, s[40:43], 0 offset:200 ; 4-byte Folded Spill
	s_waitcnt vmcnt(0)
	s_barrier
	buffer_store_dword v9, off, s[40:43], 0 offset:108 ; 4-byte Folded Spill
	v_fma_f64 v[120:121], v[229:230], s[24:25], -v[120:121]
	v_add_f64 v[118:119], v[120:121], v[118:119]
	v_fma_f64 v[120:121], v[217:218], s[20:21], v[223:224]
	v_add_f64 v[116:117], v[120:121], v[116:117]
	v_fma_f64 v[120:121], v[219:220], s[20:21], -v[231:232]
	v_add_f64 v[118:119], v[120:121], v[118:119]
	v_fma_f64 v[120:121], v[215:216], s[4:5], v[225:226]
	v_add_f64 v[124:125], v[120:121], v[116:117]
	v_fma_f64 v[116:117], v[227:228], s[4:5], -v[233:234]
	v_fma_f64 v[120:121], v[189:190], s[24:25], -v[253:254]
	v_add_f64 v[126:127], v[116:117], v[118:119]
	v_fma_f64 v[116:117], v[187:188], s[20:21], v[237:238]
	v_fma_f64 v[118:119], v[185:186], s[24:25], v[235:236]
	v_add_f64 v[116:117], v[108:109], v[116:117]
	v_add_f64 v[116:117], v[118:119], v[116:117]
	v_fma_f64 v[118:119], v[191:192], s[20:21], -v[251:252]
	v_add_f64 v[118:119], v[110:111], v[118:119]
	v_add_f64 v[118:119], v[120:121], v[118:119]
	v_fma_f64 v[120:121], v[221:222], s[2:3], v[239:240]
	v_add_f64 v[116:117], v[120:121], v[116:117]
	v_fma_f64 v[120:121], v[229:230], s[2:3], -v[245:246]
	v_add_f64 v[118:119], v[120:121], v[118:119]
	v_fma_f64 v[120:121], v[217:218], s[4:5], v[241:242]
	v_add_f64 v[116:117], v[120:121], v[116:117]
	v_fma_f64 v[120:121], v[219:220], s[4:5], -v[249:250]
	;; [unrolled: 4-line block ×3, first 2 shown]
	v_add_f64 v[130:131], v[116:117], v[118:119]
	v_fma_f64 v[116:117], v[187:188], s[22:23], v[169:170]
	v_fma_f64 v[118:119], v[185:186], s[20:21], v[152:153]
	v_add_f64 v[116:117], v[108:109], v[116:117]
	v_add_f64 v[120:121], v[118:119], v[116:117]
	v_mul_f64 v[118:119], v[201:202], s[28:29]
	v_fma_f64 v[116:117], v[191:192], s[22:23], -v[118:119]
	v_add_f64 v[132:133], v[110:111], v[116:117]
	v_mul_f64 v[116:117], v[138:139], s[34:35]
	v_fma_f64 v[134:135], v[189:190], s[20:21], -v[116:117]
	v_add_f64 v[132:133], v[134:135], v[132:133]
	v_fma_f64 v[134:135], v[221:222], s[4:5], v[177:178]
	v_add_f64 v[120:121], v[134:135], v[120:121]
	v_fma_f64 v[134:135], v[229:230], s[4:5], -v[183:184]
	v_add_f64 v[132:133], v[134:135], v[132:133]
	v_fma_f64 v[134:135], v[217:218], s[24:25], v[154:155]
	v_add_f64 v[120:121], v[134:135], v[120:121]
	;; [unrolled: 4-line block ×3, first 2 shown]
	v_fma_f64 v[120:121], v[227:228], s[2:3], -v[179:180]
	v_add_f64 v[134:135], v[120:121], v[134:135]
	v_mul_f64 v[120:121], v[203:204], s[30:31]
	v_mul_f64 v[203:204], v[207:208], s[36:37]
	;; [unrolled: 1-line block ×3, first 2 shown]
	v_fma_f64 v[142:143], v[187:188], s[24:25], v[120:121]
	v_fma_f64 v[144:145], v[185:186], s[4:5], v[203:204]
	;; [unrolled: 1-line block ×3, first 2 shown]
	v_add_f64 v[142:143], v[108:109], v[142:143]
	v_add_f64 v[142:143], v[144:145], v[142:143]
	v_mul_f64 v[144:145], v[201:202], s[30:31]
	v_fma_f64 v[201:202], v[189:190], s[4:5], -v[195:196]
	v_fma_f64 v[138:139], v[191:192], s[24:25], -v[144:145]
	v_add_f64 v[138:139], v[110:111], v[138:139]
	v_add_f64 v[138:139], v[201:202], v[138:139]
	v_mul_f64 v[201:202], v[136:137], s[28:29]
	v_fma_f64 v[136:137], v[221:222], s[22:23], v[201:202]
	v_add_f64 v[136:137], v[136:137], v[142:143]
	v_mul_f64 v[142:143], v[122:123], s[28:29]
	v_fma_f64 v[122:123], v[229:230], s[22:23], -v[142:143]
	v_add_f64 v[138:139], v[122:123], v[138:139]
	v_mul_f64 v[122:123], v[140:141], s[16:17]
	v_fma_f64 v[140:141], v[217:218], s[2:3], v[122:123]
	v_add_f64 v[136:137], v[140:141], v[136:137]
	v_fma_f64 v[140:141], v[219:220], s[2:3], -v[193:194]
	v_add_f64 v[136:137], v[146:147], v[136:137]
	v_add_f64 v[138:139], v[140:141], v[138:139]
	v_mul_f64 v[140:141], v[148:149], s[26:27]
	v_fma_f64 v[146:147], v[227:228], s[20:21], -v[140:141]
	v_add_f64 v[138:139], v[146:147], v[138:139]
	s_and_saveexec_b64 s[16:17], s[0:1]
	s_cbranch_execz .LBB0_9
; %bb.8:
	v_mul_f64 v[146:147], v[187:188], s[4:5]
	v_mul_f64 v[148:149], v[185:186], s[24:25]
	buffer_store_dword v146, off, s[40:43], 0 offset:264 ; 4-byte Folded Spill
	s_nop 0
	buffer_store_dword v147, off, s[40:43], 0 offset:268 ; 4-byte Folded Spill
	v_mul_f64 v[146:147], v[191:192], s[4:5]
	buffer_store_dword v146, off, s[40:43], 0 offset:280 ; 4-byte Folded Spill
	s_nop 0
	buffer_store_dword v147, off, s[40:43], 0 offset:284 ; 4-byte Folded Spill
	;; [unrolled: 4-line block ×3, first 2 shown]
	buffer_store_dword v156, off, s[40:43], 0 offset:352 ; 4-byte Folded Spill
	s_nop 0
	buffer_store_dword v157, off, s[40:43], 0 offset:356 ; 4-byte Folded Spill
	v_mul_f64 v[146:147], v[187:188], s[20:21]
	buffer_store_dword v158, off, s[40:43], 0 offset:248 ; 4-byte Folded Spill
	s_nop 0
	buffer_store_dword v159, off, s[40:43], 0 offset:252 ; 4-byte Folded Spill
	v_mov_b32_e32 v158, v164
	v_mul_f64 v[156:157], v[191:192], s[2:3]
	v_mov_b32_e32 v159, v165
	v_mul_f64 v[164:165], v[191:192], s[22:23]
	buffer_store_dword v146, off, s[40:43], 0 offset:416 ; 4-byte Folded Spill
	s_nop 0
	buffer_store_dword v147, off, s[40:43], 0 offset:420 ; 4-byte Folded Spill
	buffer_store_dword v160, off, s[40:43], 0 offset:376 ; 4-byte Folded Spill
	s_nop 0
	buffer_store_dword v161, off, s[40:43], 0 offset:380 ; 4-byte Folded Spill
	v_mul_f64 v[146:147], v[185:186], s[2:3]
	buffer_store_dword v162, off, s[40:43], 0 offset:392 ; 4-byte Folded Spill
	s_nop 0
	buffer_store_dword v163, off, s[40:43], 0 offset:396 ; 4-byte Folded Spill
	v_mul_f64 v[160:161], v[191:192], s[20:21]
	v_mul_f64 v[191:192], v[191:192], s[24:25]
	;; [unrolled: 1-line block ×4, first 2 shown]
	v_add_f64 v[118:119], v[118:119], v[164:165]
	v_mul_f64 v[164:165], v[219:220], s[24:25]
	buffer_store_dword v146, off, s[40:43], 0 offset:288 ; 4-byte Folded Spill
	s_nop 0
	buffer_store_dword v147, off, s[40:43], 0 offset:292 ; 4-byte Folded Spill
	v_mul_f64 v[146:147], v[189:190], s[2:3]
	buffer_store_dword v146, off, s[40:43], 0 offset:304 ; 4-byte Folded Spill
	s_nop 0
	buffer_store_dword v147, off, s[40:43], 0 offset:308 ; 4-byte Folded Spill
	v_mul_f64 v[146:147], v[185:186], s[22:23]
	v_add_f64 v[144:145], v[144:145], v[191:192]
	v_add_f64 v[120:121], v[187:188], -v[120:121]
	v_add_f64 v[118:119], v[110:111], v[118:119]
	v_add_f64 v[162:163], v[162:163], -v[169:170]
	v_mul_f64 v[169:170], v[227:228], s[2:3]
	v_mul_f64 v[191:192], v[217:218], s[4:5]
	;; [unrolled: 1-line block ×3, first 2 shown]
	buffer_store_dword v146, off, s[40:43], 0 offset:320 ; 4-byte Folded Spill
	s_nop 0
	buffer_store_dword v147, off, s[40:43], 0 offset:324 ; 4-byte Folded Spill
	buffer_store_dword v10, off, s[40:43], 0 offset:240 ; 4-byte Folded Spill
	s_nop 0
	buffer_store_dword v11, off, s[40:43], 0 offset:244 ; 4-byte Folded Spill
	;; [unrolled: 3-line block ×4, first 2 shown]
	buffer_store_dword v206, off, s[40:43], 0 offset:204 ; 4-byte Folded Spill
	buffer_store_dword v5, off, s[40:43], 0 offset:232 ; 4-byte Folded Spill
	s_nop 0
	buffer_store_dword v6, off, s[40:43], 0 offset:236 ; 4-byte Folded Spill
	buffer_store_dword v7, off, s[40:43], 0 offset:224 ; 4-byte Folded Spill
	s_nop 0
	buffer_store_dword v8, off, s[40:43], 0 offset:228 ; 4-byte Folded Spill
	v_mul_f64 v[8:9], v[221:222], s[20:21]
	v_mul_f64 v[2:3], v[185:186], s[20:21]
	v_mov_b32_e32 v206, v200
	buffer_store_dword v8, off, s[40:43], 0 offset:296 ; 4-byte Folded Spill
	s_nop 0
	buffer_store_dword v9, off, s[40:43], 0 offset:300 ; 4-byte Folded Spill
	v_mul_f64 v[8:9], v[229:230], s[20:21]
	v_mov_b32_e32 v200, v4
	v_mul_f64 v[4:5], v[189:190], s[20:21]
	buffer_store_dword v8, off, s[40:43], 0 offset:328 ; 4-byte Folded Spill
	s_nop 0
	buffer_store_dword v9, off, s[40:43], 0 offset:332 ; 4-byte Folded Spill
	v_mul_f64 v[8:9], v[221:222], s[24:25]
	v_mul_f64 v[6:7], v[185:186], s[4:5]
	;; [unrolled: 1-line block ×3, first 2 shown]
	buffer_store_dword v8, off, s[40:43], 0 offset:336 ; 4-byte Folded Spill
	s_nop 0
	buffer_store_dword v9, off, s[40:43], 0 offset:340 ; 4-byte Folded Spill
	buffer_store_dword v12, off, s[40:43], 0 offset:256 ; 4-byte Folded Spill
	s_nop 0
	buffer_store_dword v13, off, s[40:43], 0 offset:260 ; 4-byte Folded Spill
	v_mul_f64 v[8:9], v[217:218], s[22:23]
	buffer_store_dword v14, off, s[40:43], 0 offset:360 ; 4-byte Folded Spill
	s_nop 0
	buffer_store_dword v15, off, s[40:43], 0 offset:364 ; 4-byte Folded Spill
	buffer_store_dword v173, off, s[40:43], 0 offset:368 ; 4-byte Folded Spill
	s_nop 0
	buffer_store_dword v174, off, s[40:43], 0 offset:372 ; 4-byte Folded Spill
	;; [unrolled: 3-line block ×6, first 2 shown]
	v_mul_f64 v[10:11], v[189:190], s[22:23]
	v_mul_f64 v[0:1], v[189:190], s[24:25]
	v_mov_b32_e32 v151, v21
	v_mov_b32_e32 v190, v23
	v_mul_f64 v[8:9], v[219:220], s[22:23]
	v_mul_f64 v[14:15], v[221:222], s[2:3]
	;; [unrolled: 1-line block ×3, first 2 shown]
	v_mov_b32_e32 v150, v20
	v_mul_f64 v[20:21], v[229:230], s[4:5]
	v_mov_b32_e32 v189, v22
	v_mul_f64 v[22:23], v[221:222], s[22:23]
	v_mul_f64 v[221:222], v[229:230], s[22:23]
	v_add_f64 v[185:186], v[195:196], v[185:186]
	v_add_f64 v[144:145], v[110:111], v[144:145]
	v_add_f64 v[4:5], v[116:117], v[4:5]
	buffer_store_dword v8, off, s[40:43], 0 offset:344 ; 4-byte Folded Spill
	s_nop 0
	buffer_store_dword v9, off, s[40:43], 0 offset:348 ; 4-byte Folded Spill
	v_mul_f64 v[8:9], v[219:220], s[20:21]
	v_mul_f64 v[173:174], v[219:220], s[4:5]
	v_mul_f64 v[219:220], v[219:220], s[2:3]
	v_add_f64 v[142:143], v[142:143], v[221:222]
	v_add_f64 v[6:7], v[6:7], -v[203:204]
	v_add_f64 v[116:117], v[185:186], v[144:145]
	v_add_f64 v[20:21], v[183:184], v[20:21]
	;; [unrolled: 1-line block ×4, first 2 shown]
	v_mul_f64 v[203:204], v[227:228], s[20:21]
	v_add_f64 v[193:194], v[193:194], v[219:220]
	v_add_f64 v[22:23], v[22:23], -v[201:202]
	v_add_f64 v[2:3], v[2:3], -v[152:153]
	v_add_f64 v[116:117], v[142:143], v[116:117]
	v_add_f64 v[142:143], v[108:109], v[162:163]
	;; [unrolled: 1-line block ×5, first 2 shown]
	v_mul_f64 v[195:196], v[217:218], s[24:25]
	v_mul_f64 v[118:119], v[215:216], s[20:21]
	v_add_f64 v[20:21], v[140:141], v[203:204]
	v_add_f64 v[116:117], v[193:194], v[116:117]
	v_add_f64 v[18:19], v[18:19], -v[177:178]
	v_add_f64 v[6:7], v[22:23], v[6:7]
	v_add_f64 v[22:23], v[179:180], v[169:170]
	;; [unrolled: 1-line block ×7, first 2 shown]
	v_add_f64 v[20:21], v[118:119], -v[207:208]
	v_add_f64 v[118:119], v[195:196], -v[154:155]
	v_mul_f64 v[12:13], v[229:230], s[24:25]
	v_add_f64 v[2:3], v[18:19], v[2:3]
	v_add_f64 v[120:121], v[22:23], v[4:5]
	;; [unrolled: 1-line block ×3, first 2 shown]
	v_mul_f64 v[16:17], v[229:230], s[2:3]
	v_mul_f64 v[229:230], v[217:218], s[20:21]
	;; [unrolled: 1-line block ×4, first 2 shown]
	v_add_f64 v[22:23], v[213:214], v[156:157]
	v_add_f64 v[2:3], v[118:119], v[2:3]
	buffer_load_dword v118, off, s[40:43], 0 offset:416 ; 4-byte Folded Reload
	buffer_load_dword v119, off, s[40:43], 0 offset:420 ; 4-byte Folded Reload
	v_add_f64 v[0:1], v[0:1], v[4:5]
	buffer_load_dword v4, off, s[40:43], 0 offset:180 ; 4-byte Folded Reload
	buffer_load_dword v5, off, s[40:43], 0 offset:184 ; 4-byte Folded Reload
	v_add_f64 v[16:17], v[245:246], v[16:17]
	v_add_f64 v[122:123], v[217:218], -v[122:123]
	v_add_f64 v[18:19], v[140:141], -v[167:168]
	v_add_f64 v[140:141], v[108:109], v[211:212]
	v_add_f64 v[22:23], v[110:111], v[22:23]
	;; [unrolled: 1-line block ×4, first 2 shown]
	v_add_f64 v[152:153], v[148:149], -v[235:236]
	v_add_f64 v[0:1], v[16:17], v[0:1]
	v_add_f64 v[6:7], v[122:123], v[6:7]
	;; [unrolled: 1-line block ×4, first 2 shown]
	v_mul_f64 v[144:145], v[227:228], s[4:5]
	v_add_f64 v[14:15], v[14:15], -v[239:240]
	v_mul_f64 v[221:222], v[215:216], s[24:25]
	v_mul_f64 v[183:184], v[227:228], s[22:23]
	v_add_f64 v[0:1], v[142:143], v[0:1]
	v_mul_f64 v[146:147], v[215:216], s[4:5]
	v_add_f64 v[122:123], v[122:123], v[209:210]
	v_mul_f64 v[185:186], v[215:216], s[22:23]
	s_waitcnt vmcnt(2)
	v_add_f64 v[118:119], v[118:119], -v[237:238]
	s_waitcnt vmcnt(0)
	v_add_f64 v[4:5], v[4:5], v[10:11]
	buffer_load_dword v10, off, s[40:43], 0 offset:196 ; 4-byte Folded Reload
	buffer_load_dword v11, off, s[40:43], 0 offset:200 ; 4-byte Folded Reload
	v_add_f64 v[118:119], v[108:109], v[118:119]
	v_add_f64 v[4:5], v[4:5], v[22:23]
	;; [unrolled: 1-line block ×5, first 2 shown]
	s_waitcnt vmcnt(0)
	v_add_f64 v[12:13], v[10:11], v[12:13]
	buffer_load_dword v10, off, s[40:43], 0 offset:392 ; 4-byte Folded Reload
	buffer_load_dword v11, off, s[40:43], 0 offset:396 ; 4-byte Folded Reload
	v_add_f64 v[4:5], v[12:13], v[4:5]
	v_add_f64 v[4:5], v[8:9], v[4:5]
	s_waitcnt vmcnt(0)
	v_add_f64 v[16:17], v[122:123], v[10:11]
	buffer_load_dword v10, off, s[40:43], 0 offset:376 ; 4-byte Folded Reload
	buffer_load_dword v11, off, s[40:43], 0 offset:380 ; 4-byte Folded Reload
	v_add_f64 v[122:123], v[247:248], v[183:184]
	s_waitcnt vmcnt(0)
	v_add_f64 v[22:23], v[140:141], v[10:11]
	buffer_load_dword v10, off, s[40:43], 0 offset:352 ; 4-byte Folded Reload
	buffer_load_dword v11, off, s[40:43], 0 offset:356 ; 4-byte Folded Reload
	v_add_f64 v[140:141], v[191:192], -v[241:242]
	v_add_f64 v[14:15], v[140:141], v[14:15]
	s_waitcnt vmcnt(0)
	v_add_f64 v[12:13], v[16:17], v[10:11]
	buffer_load_dword v10, off, s[40:43], 0 offset:280 ; 4-byte Folded Reload
	buffer_load_dword v11, off, s[40:43], 0 offset:284 ; 4-byte Folded Reload
	buffer_load_dword v8, off, s[40:43], 0 offset:408 ; 4-byte Folded Reload
	buffer_load_dword v9, off, s[40:43], 0 offset:412 ; 4-byte Folded Reload
	v_add_f64 v[16:17], v[22:23], v[150:151]
	v_add_f64 v[22:23], v[185:186], -v[243:244]
	s_waitcnt vmcnt(2)
	v_add_f64 v[142:143], v[171:172], v[10:11]
	buffer_load_dword v10, off, s[40:43], 0 offset:400 ; 4-byte Folded Reload
	buffer_load_dword v11, off, s[40:43], 0 offset:404 ; 4-byte Folded Reload
	s_waitcnt vmcnt(2)
	v_add_f64 v[8:9], v[12:13], v[8:9]
	v_add_f64 v[110:111], v[110:111], v[142:143]
	s_waitcnt vmcnt(0)
	v_add_f64 v[12:13], v[16:17], v[10:11]
	buffer_load_dword v10, off, s[40:43], 0 offset:264 ; 4-byte Folded Reload
	buffer_load_dword v11, off, s[40:43], 0 offset:268 ; 4-byte Folded Reload
	s_waitcnt vmcnt(0)
	v_add_f64 v[16:17], v[10:11], -v[189:190]
	buffer_load_dword v10, off, s[40:43], 0 offset:164 ; 4-byte Folded Reload
	buffer_load_dword v11, off, s[40:43], 0 offset:168 ; 4-byte Folded Reload
	buffer_load_dword v144, off, s[40:43], 0 offset:272 ; 4-byte Folded Reload
	buffer_load_dword v145, off, s[40:43], 0 offset:276 ; 4-byte Folded Reload
	v_add_f64 v[16:17], v[108:109], v[16:17]
	s_waitcnt vmcnt(0)
	v_add_f64 v[144:145], v[144:145], -v[10:11]
	buffer_load_dword v10, off, s[40:43], 0 offset:172 ; 4-byte Folded Reload
	buffer_load_dword v11, off, s[40:43], 0 offset:176 ; 4-byte Folded Reload
	buffer_load_dword v148, off, s[40:43], 0 offset:320 ; 4-byte Folded Reload
	buffer_load_dword v149, off, s[40:43], 0 offset:324 ; 4-byte Folded Reload
	v_add_f64 v[108:109], v[108:109], v[144:145]
	;; [unrolled: 7-line block ×3, first 2 shown]
	v_add_f64 v[152:153], v[146:147], -v[225:226]
	s_waitcnt vmcnt(0)
	v_add_f64 v[154:155], v[148:149], v[10:11]
	buffer_load_dword v10, off, s[40:43], 0 offset:288 ; 4-byte Folded Reload
	buffer_load_dword v11, off, s[40:43], 0 offset:292 ; 4-byte Folded Reload
	;; [unrolled: 1-line block ×4, first 2 shown]
	v_add_f64 v[110:111], v[154:155], v[110:111]
	s_waitcnt vmcnt(0)
	v_add_f64 v[142:143], v[10:11], -v[142:143]
	buffer_load_dword v10, off, s[40:43], 0 offset:248 ; 4-byte Folded Reload
	buffer_load_dword v11, off, s[40:43], 0 offset:252 ; 4-byte Folded Reload
	v_add_f64 v[16:17], v[142:143], v[16:17]
	s_waitcnt vmcnt(0)
	v_add_f64 v[8:9], v[8:9], v[10:11]
	buffer_load_dword v10, off, s[40:43], 0 offset:360 ; 4-byte Folded Reload
	buffer_load_dword v11, off, s[40:43], 0 offset:364 ; 4-byte Folded Reload
	v_add_f64 v[8:9], v[8:9], v[114:115]
	s_waitcnt vmcnt(0)
	v_add_f64 v[12:13], v[12:13], v[10:11]
	buffer_load_dword v10, off, s[40:43], 0 offset:188 ; 4-byte Folded Reload
	buffer_load_dword v11, off, s[40:43], 0 offset:192 ; 4-byte Folded Reload
	;; [unrolled: 1-line block ×4, first 2 shown]
	v_add_f64 v[12:13], v[12:13], v[112:113]
	s_waitcnt vmcnt(0)
	v_add_f64 v[144:145], v[144:145], -v[10:11]
	buffer_load_dword v10, off, s[40:43], 0 offset:124 ; 4-byte Folded Reload
	buffer_load_dword v11, off, s[40:43], 0 offset:128 ; 4-byte Folded Reload
	;; [unrolled: 1-line block ×4, first 2 shown]
	v_add_f64 v[108:109], v[144:145], v[108:109]
	s_waitcnt vmcnt(0)
	v_add_f64 v[148:149], v[10:11], v[148:149]
	buffer_load_dword v10, off, s[40:43], 0 offset:116 ; 4-byte Folded Reload
	buffer_load_dword v11, off, s[40:43], 0 offset:120 ; 4-byte Folded Reload
	;; [unrolled: 1-line block ×8, first 2 shown]
	v_add_f64 v[110:111], v[148:149], v[110:111]
	s_waitcnt vmcnt(4)
	v_add_f64 v[150:151], v[150:151], -v[10:11]
	s_waitcnt vmcnt(0)
	v_add_f64 v[112:113], v[112:113], v[114:115]
	buffer_load_dword v114, off, s[40:43], 0 offset:132 ; 4-byte Folded Reload
	buffer_load_dword v115, off, s[40:43], 0 offset:136 ; 4-byte Folded Reload
	;; [unrolled: 1-line block ×4, first 2 shown]
	v_add_f64 v[10:11], v[229:230], -v[223:224]
	v_add_f64 v[16:17], v[150:151], v[16:17]
	v_add_f64 v[112:113], v[112:113], v[110:111]
	v_add_f64 v[10:11], v[10:11], v[108:109]
	v_add_f64 v[108:109], v[22:23], v[14:15]
	v_add_f64 v[140:141], v[152:153], v[10:11]
	s_waitcnt vmcnt(0)
	v_add_f64 v[114:115], v[142:143], -v[114:115]
	buffer_load_dword v142, off, s[40:43], 0 offset:240 ; 4-byte Folded Reload
	buffer_load_dword v143, off, s[40:43], 0 offset:244 ; 4-byte Folded Reload
	v_add_f64 v[16:17], v[114:115], v[16:17]
	v_add_f64 v[114:115], v[20:21], v[6:7]
	s_waitcnt vmcnt(0)
	v_add_f64 v[8:9], v[8:9], v[142:143]
	buffer_load_dword v142, off, s[40:43], 0 offset:256 ; 4-byte Folded Reload
	buffer_load_dword v143, off, s[40:43], 0 offset:260 ; 4-byte Folded Reload
	s_waitcnt vmcnt(0)
	v_add_f64 v[12:13], v[12:13], v[142:143]
	buffer_load_dword v142, off, s[40:43], 0 offset:156 ; 4-byte Folded Reload
	buffer_load_dword v143, off, s[40:43], 0 offset:160 ; 4-byte Folded Reload
	;; [unrolled: 1-line block ×4, first 2 shown]
	s_waitcnt vmcnt(2)
	v_add_f64 v[144:145], v[142:143], v[187:188]
	s_waitcnt vmcnt(0)
	v_add_f64 v[154:155], v[221:222], -v[110:111]
	buffer_load_dword v110, off, s[40:43], 0 offset:232 ; 4-byte Folded Reload
	buffer_load_dword v111, off, s[40:43], 0 offset:236 ; 4-byte Folded Reload
	v_add_f64 v[142:143], v[118:119], v[4:5]
	v_mov_b32_e32 v4, v200
	v_mov_b32_e32 v200, v206
	v_add_f64 v[118:119], v[18:19], v[2:3]
	v_add_f64 v[146:147], v[144:145], v[112:113]
	;; [unrolled: 1-line block ×3, first 2 shown]
	s_waitcnt vmcnt(0)
	v_add_f64 v[8:9], v[8:9], v[110:111]
	buffer_load_dword v110, off, s[40:43], 0 offset:224 ; 4-byte Folded Reload
	buffer_load_dword v111, off, s[40:43], 0 offset:228 ; 4-byte Folded Reload
	;; [unrolled: 1-line block ×3, first 2 shown]
	s_waitcnt vmcnt(1)
	v_add_f64 v[12:13], v[12:13], v[110:111]
	v_add_f64 v[110:111], v[122:123], v[0:1]
	buffer_load_dword v0, off, s[40:43], 0 offset:208 ; 4-byte Folded Reload
	buffer_load_dword v1, off, s[40:43], 0 offset:212 ; 4-byte Folded Reload
	s_waitcnt vmcnt(0)
	v_add_f64 v[150:151], v[8:9], v[0:1]
	buffer_load_dword v0, off, s[40:43], 0 offset:216 ; 4-byte Folded Reload
	buffer_load_dword v1, off, s[40:43], 0 offset:220 ; 4-byte Folded Reload
	s_waitcnt vmcnt(0)
	v_add_f64 v[148:149], v[12:13], v[0:1]
	v_mul_u32_u24_e32 v0, 0x1ce, v199
	v_add_lshl_u32 v0, v0, v200, 4
	ds_write_b128 v0, v[148:151]
	ds_write_b128 v0, v[144:147] offset:672
	ds_write_b128 v0, v[140:143] offset:1344
	;; [unrolled: 1-line block ×10, first 2 shown]
.LBB0_9:
	s_or_b64 exec, exec, s[16:17]
	v_lshlrev_b32_e32 v0, 4, v4
	v_mov_b32_e32 v4, s15
	v_add_co_u32_e64 v2, s[2:3], s14, v0
	v_addc_co_u32_e64 v3, s[2:3], 0, v4, s[2:3]
	s_movk_i32 s4, 0x1cc0
	v_add_co_u32_e64 v0, s[2:3], s4, v2
	v_addc_co_u32_e64 v1, s[2:3], 0, v3, s[2:3]
	s_movk_i32 s5, 0x1000
	v_add_co_u32_e64 v2, s[2:3], s5, v2
	v_addc_co_u32_e64 v3, s[2:3], 0, v3, s[2:3]
	s_waitcnt vmcnt(0) lgkmcnt(0)
	s_barrier
	global_load_dwordx4 v[108:111], v[2:3], off offset:3264
	global_load_dwordx4 v[112:115], v[0:1], off offset:16
	buffer_load_dword v189, off, s[40:43], 0 offset:96 ; 4-byte Folded Reload
	s_movk_i32 s15, 0x5000
	s_mov_b32 s16, 0x8000
	s_mov_b32 s17, 0x9000
	s_waitcnt vmcnt(0)
	v_add_co_u32_e64 v2, s[2:3], s14, v189
	v_addc_co_u32_e64 v3, s[2:3], 0, v4, s[2:3]
	v_add_co_u32_e64 v0, s[2:3], s5, v2
	v_addc_co_u32_e64 v1, s[2:3], 0, v3, s[2:3]
	global_load_dwordx4 v[116:119], v[0:1], off offset:3264
	v_add_co_u32_e64 v0, s[2:3], s4, v2
	v_addc_co_u32_e64 v1, s[2:3], 0, v3, s[2:3]
	global_load_dwordx4 v[120:123], v[0:1], off offset:16
	ds_read_b128 v[140:143], v255
	ds_read_b128 v[144:147], v255 offset:3696
	ds_read_b128 v[148:151], v255 offset:7392
	;; [unrolled: 1-line block ×5, first 2 shown]
	v_lshlrev_b32_e32 v0, 4, v198
	s_waitcnt lgkmcnt(3)
	v_mul_f64 v[2:3], v[150:151], v[110:111]
	v_mul_f64 v[4:5], v[148:149], v[110:111]
	s_waitcnt lgkmcnt(1)
	v_mul_f64 v[6:7], v[158:159], v[114:115]
	v_mul_f64 v[8:9], v[156:157], v[114:115]
	v_mov_b32_e32 v1, s13
	s_mov_b32 s4, 0xe8584caa
	v_add_co_u32_e64 v164, s[2:3], s12, v0
	v_fma_f64 v[2:3], v[148:149], v[108:109], -v[2:3]
	v_fma_f64 v[4:5], v[150:151], v[108:109], v[4:5]
	v_fma_f64 v[6:7], v[156:157], v[112:113], -v[6:7]
	v_fma_f64 v[8:9], v[158:159], v[112:113], v[8:9]
	s_mov_b32 s5, 0x3febb67a
	s_mov_b32 s13, 0xbfebb67a
	s_movk_i32 s14, 0x56a0
	v_addc_co_u32_e64 v165, s[2:3], 0, v1, s[2:3]
	v_add_f64 v[148:149], v[142:143], v[4:5]
	v_add_f64 v[22:23], v[2:3], v[6:7]
	v_add_f64 v[150:151], v[4:5], -v[8:9]
	v_add_f64 v[4:5], v[4:5], v[8:9]
	v_add_f64 v[20:21], v[140:141], v[2:3]
	v_add_f64 v[2:3], v[2:3], -v[6:7]
	s_mov_b32 s12, s4
	v_add_co_u32_e64 v0, s[2:3], s14, v164
	v_fma_f64 v[22:23], v[22:23], -0.5, v[140:141]
	v_addc_co_u32_e64 v1, s[2:3], 0, v165, s[2:3]
	v_fma_f64 v[4:5], v[4:5], -0.5, v[142:143]
	v_add_f64 v[140:141], v[20:21], v[6:7]
	v_add_f64 v[142:143], v[148:149], v[8:9]
	v_add_co_u32_e64 v18, s[2:3], s15, v164
	v_fma_f64 v[148:149], v[150:151], s[4:5], v[22:23]
	v_addc_co_u32_e64 v19, s[2:3], 0, v165, s[2:3]
	s_waitcnt vmcnt(1)
	v_mul_f64 v[10:11], v[154:155], v[118:119]
	v_mul_f64 v[12:13], v[152:153], v[118:119]
	s_waitcnt vmcnt(0) lgkmcnt(0)
	v_mul_f64 v[14:15], v[162:163], v[122:123]
	v_mul_f64 v[16:17], v[160:161], v[122:123]
	v_fma_f64 v[10:11], v[152:153], v[116:117], -v[10:11]
	v_fma_f64 v[12:13], v[154:155], v[116:117], v[12:13]
	v_fma_f64 v[14:15], v[160:161], v[120:121], -v[14:15]
	v_fma_f64 v[16:17], v[162:163], v[120:121], v[16:17]
	v_add_f64 v[152:153], v[144:145], v[10:11]
	v_add_f64 v[156:157], v[146:147], v[12:13]
	;; [unrolled: 1-line block ×3, first 2 shown]
	v_add_f64 v[158:159], v[12:13], -v[16:17]
	v_add_f64 v[12:13], v[12:13], v[16:17]
	v_add_f64 v[10:11], v[10:11], -v[14:15]
	v_fma_f64 v[6:7], v[154:155], -0.5, v[144:145]
	v_add_f64 v[144:145], v[152:153], v[14:15]
	v_fma_f64 v[8:9], v[12:13], -0.5, v[146:147]
	v_add_f64 v[146:147], v[156:157], v[16:17]
	v_fma_f64 v[152:153], v[150:151], s[12:13], v[22:23]
	v_fma_f64 v[150:151], v[2:3], s[12:13], v[4:5]
	;; [unrolled: 1-line block ×3, first 2 shown]
	v_add_co_u32_e64 v2, s[2:3], s16, v164
	v_fma_f64 v[156:157], v[158:159], s[4:5], v[6:7]
	v_fma_f64 v[160:161], v[158:159], s[12:13], v[6:7]
	;; [unrolled: 1-line block ×4, first 2 shown]
	v_addc_co_u32_e64 v3, s[2:3], 0, v165, s[2:3]
	ds_write_b128 v255, v[140:143]
	ds_write_b128 v255, v[144:147] offset:3696
	ds_write_b128 v255, v[148:151] offset:7392
	;; [unrolled: 1-line block ×5, first 2 shown]
	s_waitcnt lgkmcnt(0)
	s_barrier
	global_load_dwordx4 v[140:143], v[18:19], off offset:1696
	global_load_dwordx4 v[144:147], v[0:1], off offset:3696
	v_add_co_u32_e64 v0, s[2:3], s17, v164
	v_addc_co_u32_e64 v1, s[2:3], 0, v165, s[2:3]
	global_load_dwordx4 v[148:151], v[2:3], off offset:496
	global_load_dwordx4 v[152:155], v[0:1], off offset:96
	s_movk_i32 s2, 0x7000
	v_add_co_u32_e64 v2, s[2:3], s2, v164
	v_addc_co_u32_e64 v3, s[2:3], 0, v165, s[2:3]
	global_load_dwordx4 v[156:159], v[2:3], off offset:896
	global_load_dwordx4 v[160:163], v[0:1], off offset:3792
	ds_read_b128 v[165:168], v255
	ds_read_b128 v[169:172], v255 offset:3696
	ds_read_b128 v[173:176], v255 offset:11088
	ds_read_b128 v[177:180], v255 offset:7392
	ds_read_b128 v[181:184], v255 offset:14784
	ds_read_b128 v[185:188], v255 offset:18480
	s_waitcnt vmcnt(5) lgkmcnt(5)
	v_mul_f64 v[0:1], v[167:168], v[142:143]
	v_mul_f64 v[2:3], v[165:166], v[142:143]
	s_waitcnt vmcnt(4) lgkmcnt(4)
	v_mul_f64 v[8:9], v[171:172], v[146:147]
	v_mul_f64 v[10:11], v[169:170], v[146:147]
	;; [unrolled: 3-line block ×4, first 2 shown]
	v_fma_f64 v[165:166], v[165:166], v[140:141], -v[0:1]
	v_fma_f64 v[167:168], v[167:168], v[140:141], v[2:3]
	s_waitcnt vmcnt(1)
	v_mul_f64 v[16:17], v[179:180], v[158:159]
	v_mul_f64 v[18:19], v[177:178], v[158:159]
	s_waitcnt vmcnt(0) lgkmcnt(0)
	v_mul_f64 v[20:21], v[187:188], v[162:163]
	v_mul_f64 v[22:23], v[185:186], v[162:163]
	v_fma_f64 v[140:141], v[173:174], v[148:149], -v[4:5]
	v_fma_f64 v[142:143], v[175:176], v[148:149], v[6:7]
	v_fma_f64 v[146:147], v[169:170], v[144:145], -v[8:9]
	v_fma_f64 v[148:149], v[171:172], v[144:145], v[10:11]
	v_fma_f64 v[150:151], v[181:182], v[152:153], -v[12:13]
	v_fma_f64 v[152:153], v[183:184], v[152:153], v[14:15]
	v_fma_f64 v[154:155], v[177:178], v[156:157], -v[16:17]
	v_fma_f64 v[156:157], v[179:180], v[156:157], v[18:19]
	v_fma_f64 v[158:159], v[185:186], v[160:161], -v[20:21]
	v_fma_f64 v[160:161], v[187:188], v[160:161], v[22:23]
	ds_write_b128 v255, v[165:168]
	ds_write_b128 v255, v[140:143] offset:11088
	ds_write_b128 v255, v[146:149] offset:3696
	;; [unrolled: 1-line block ×5, first 2 shown]
	s_waitcnt lgkmcnt(0)
	s_barrier
	ds_read_b128 v[140:143], v255 offset:11088
	ds_read_b128 v[152:155], v255
	ds_read_b128 v[156:159], v255 offset:3696
	ds_read_b128 v[148:151], v255 offset:14784
	;; [unrolled: 1-line block ×4, first 2 shown]
	s_waitcnt lgkmcnt(4)
	v_add_f64 v[144:145], v[152:153], -v[140:141]
	v_add_f64 v[146:147], v[154:155], -v[142:143]
	s_waitcnt lgkmcnt(2)
	v_add_f64 v[148:149], v[156:157], -v[148:149]
	v_add_f64 v[150:151], v[158:159], -v[150:151]
	s_waitcnt lgkmcnt(0)
	s_barrier
	v_add_f64 v[160:161], v[165:166], -v[160:161]
	v_fma_f64 v[140:141], v[152:153], 2.0, -v[144:145]
	v_fma_f64 v[142:143], v[154:155], 2.0, -v[146:147]
	;; [unrolled: 1-line block ×4, first 2 shown]
	ds_write_b128 v206, v[144:147] offset:16
	ds_write_b128 v206, v[140:143]
	ds_write_b128 v189, v[152:155]
	ds_write_b128 v189, v[148:151] offset:16
	buffer_load_dword v0, off, s[40:43], 0 offset:108 ; 4-byte Folded Reload
	v_add_f64 v[162:163], v[167:168], -v[162:163]
	v_fma_f64 v[156:157], v[165:166], 2.0, -v[160:161]
	v_fma_f64 v[158:159], v[167:168], 2.0, -v[162:163]
	s_waitcnt vmcnt(0)
	ds_write_b128 v0, v[156:159]
	ds_write_b128 v0, v[160:163] offset:16
	s_waitcnt lgkmcnt(0)
	s_barrier
	s_and_saveexec_b64 s[2:3], vcc
	s_cbranch_execz .LBB0_11
; %bb.10:
	ds_read_b128 v[140:143], v255
	ds_read_b128 v[144:147], v255 offset:3168
	ds_read_b128 v[152:155], v255 offset:6336
	;; [unrolled: 1-line block ×6, first 2 shown]
.LBB0_11:
	s_or_b64 exec, exec, s[2:3]
	s_waitcnt lgkmcnt(5)
	v_mul_f64 v[2:3], v[38:39], v[144:145]
	s_waitcnt lgkmcnt(4)
	v_mul_f64 v[6:7], v[34:35], v[152:153]
	;; [unrolled: 2-line block ×3, first 2 shown]
	v_mul_f64 v[18:19], v[46:47], v[160:161]
	v_mul_f64 v[0:1], v[38:39], v[146:147]
	;; [unrolled: 1-line block ×5, first 2 shown]
	v_fma_f64 v[2:3], v[36:37], v[146:147], -v[2:3]
	v_fma_f64 v[6:7], v[32:33], v[154:155], -v[6:7]
	v_mul_f64 v[12:13], v[30:31], v[150:151]
	v_mul_f64 v[14:15], v[30:31], v[148:149]
	;; [unrolled: 1-line block ×4, first 2 shown]
	v_fma_f64 v[10:11], v[40:41], v[138:139], -v[10:11]
	v_fma_f64 v[18:19], v[44:45], v[162:163], -v[18:19]
	v_fma_f64 v[0:1], v[36:37], v[144:145], v[0:1]
	v_fma_f64 v[4:5], v[32:33], v[152:153], v[4:5]
	;; [unrolled: 1-line block ×5, first 2 shown]
	v_fma_f64 v[14:15], v[28:29], v[150:151], -v[14:15]
	v_fma_f64 v[20:21], v[24:25], v[156:157], v[20:21]
	v_fma_f64 v[22:23], v[24:25], v[158:159], -v[22:23]
	v_add_f64 v[40:41], v[2:3], v[10:11]
	v_add_f64 v[42:43], v[6:7], v[18:19]
	;; [unrolled: 1-line block ×4, first 2 shown]
	v_add_f64 v[136:137], v[0:1], -v[8:9]
	v_add_f64 v[34:35], v[2:3], -v[10:11]
	v_add_f64 v[0:1], v[12:13], v[20:21]
	v_add_f64 v[2:3], v[14:15], v[22:23]
	v_add_f64 v[144:145], v[4:5], -v[16:17]
	v_add_f64 v[10:11], v[42:43], v[40:41]
	v_add_f64 v[38:39], v[6:7], -v[18:19]
	v_add_f64 v[4:5], v[20:21], -v[12:13]
	;; [unrolled: 1-line block ×3, first 2 shown]
	v_add_f64 v[8:9], v[36:37], v[32:33]
	v_add_f64 v[12:13], v[32:33], -v[0:1]
	v_add_f64 v[14:15], v[40:41], -v[2:3]
	v_add_f64 v[154:155], v[2:3], -v[42:43]
	v_add_f64 v[2:3], v[2:3], v[10:11]
	v_add_f64 v[152:153], v[0:1], -v[36:37]
	v_add_f64 v[16:17], v[4:5], v[144:145]
	v_add_f64 v[18:19], v[6:7], v[38:39]
	;; [unrolled: 1-line block ×3, first 2 shown]
	v_add_f64 v[156:157], v[4:5], -v[144:145]
	v_add_f64 v[158:159], v[6:7], -v[38:39]
	;; [unrolled: 1-line block ×4, first 2 shown]
	s_mov_b32 s2, 0x37e14327
	s_mov_b32 s3, 0x3fe948f6
	v_add_f64 v[26:27], v[142:143], v[2:3]
	v_mul_f64 v[142:143], v[12:13], s[2:3]
	v_mul_f64 v[148:149], v[14:15], s[2:3]
	s_mov_b32 s2, 0xb247c609
	s_mov_b32 s3, 0xbfd5d0dc
	v_add_f64 v[24:25], v[140:141], v[0:1]
	v_mul_f64 v[162:163], v[4:5], s[2:3]
	v_mul_f64 v[160:161], v[6:7], s[2:3]
	s_mov_b32 s4, 0x36b3c0b5
	s_mov_b32 s12, 0xe976ee23
	s_mov_b32 s2, 0xaaaaaaaa
	s_mov_b32 s5, 0x3fac98ee
	s_mov_b32 s13, 0x3fe11646
	s_mov_b32 s3, 0xbff2aaaa
	v_add_f64 v[165:166], v[16:17], v[136:137]
	v_add_f64 v[167:168], v[18:19], v[34:35]
	v_fma_f64 v[146:147], v[0:1], s[2:3], v[24:25]
	v_fma_f64 v[150:151], v[2:3], s[2:3], v[26:27]
	;; [unrolled: 1-line block ×6, first 2 shown]
	s_mov_b32 s14, 0x37c3f68c
	s_mov_b32 s15, 0xbfdc38aa
	s_barrier
	v_add_f64 v[44:45], v[0:1], v[146:147]
	v_add_f64 v[138:139], v[2:3], v[150:151]
	v_fma_f64 v[46:47], v[167:168], s[14:15], v[4:5]
	v_fma_f64 v[140:141], v[165:166], s[14:15], v[6:7]
	v_add_f64 v[28:29], v[44:45], -v[46:47]
	v_add_f64 v[30:31], v[140:141], v[138:139]
	s_and_saveexec_b64 s[2:3], vcc
	s_cbranch_execz .LBB0_13
; %bb.12:
	v_add_f64 v[8:9], v[144:145], -v[136:137]
	v_add_f64 v[14:15], v[42:43], -v[40:41]
	;; [unrolled: 1-line block ×4, first 2 shown]
	v_mul_f64 v[0:1], v[152:153], s[4:5]
	v_mul_f64 v[12:13], v[158:159], s[12:13]
	;; [unrolled: 1-line block ×4, first 2 shown]
	s_mov_b32 s5, 0x3febfeb5
	s_mov_b32 s4, 0x429ad128
	s_mov_b32 s13, 0xbfe77f67
	s_mov_b32 s12, 0x5476071b
	v_fma_f64 v[20:21], v[8:9], s[4:5], -v[162:163]
	v_fma_f64 v[22:23], v[14:15], s[12:13], -v[148:149]
	v_fma_f64 v[32:33], v[16:17], s[12:13], -v[142:143]
	v_fma_f64 v[34:35], v[18:19], s[4:5], -v[160:161]
	s_mov_b32 s13, 0x3fe77f67
	s_mov_b32 s5, 0xbfebfeb5
	v_mul_f64 v[6:7], v[167:168], s[14:15]
	v_fma_f64 v[0:1], v[16:17], s[12:13], -v[0:1]
	v_fma_f64 v[12:13], v[18:19], s[4:5], -v[12:13]
	;; [unrolled: 1-line block ×3, first 2 shown]
	v_add_f64 v[14:15], v[22:23], v[150:151]
	v_mul_f64 v[4:5], v[165:166], s[14:15]
	v_fma_f64 v[8:9], v[8:9], s[4:5], -v[10:11]
	v_add_f64 v[138:139], v[138:139], -v[140:141]
	v_add_f64 v[22:23], v[6:7], v[34:35]
	v_add_f64 v[0:1], v[0:1], v[146:147]
	;; [unrolled: 1-line block ×8, first 2 shown]
	v_add_f64 v[40:41], v[0:1], -v[6:7]
	v_add_f64 v[36:37], v[6:7], v[0:1]
	buffer_load_dword v0, off, s[40:43], 0 offset:112 ; 4-byte Folded Reload
	v_add_f64 v[142:143], v[14:15], -v[10:11]
	v_add_f64 v[140:141], v[22:23], v[20:21]
	v_add_f64 v[42:43], v[4:5], v[2:3]
	v_add_f64 v[38:39], v[2:3], -v[4:5]
	v_add_f64 v[34:35], v[10:11], v[14:15]
	v_add_f64 v[32:33], v[20:21], -v[22:23]
	s_waitcnt vmcnt(0)
	v_mul_u32_u24_e32 v0, 14, v0
	v_or_b32_e32 v0, v0, v205
	v_lshlrev_b32_e32 v0, 4, v0
	ds_write_b128 v0, v[24:27]
	ds_write_b128 v0, v[136:139] offset:32
	ds_write_b128 v0, v[140:143] offset:64
	;; [unrolled: 1-line block ×6, first 2 shown]
.LBB0_13:
	s_or_b64 exec, exec, s[2:3]
	s_waitcnt lgkmcnt(0)
	s_barrier
	ds_read_b128 v[24:27], v255 offset:7392
	ds_read_b128 v[32:35], v255 offset:14784
	;; [unrolled: 1-line block ×4, first 2 shown]
	ds_read_b128 v[44:47], v255
	ds_read_b128 v[136:139], v255 offset:3696
	s_waitcnt lgkmcnt(5)
	v_mul_f64 v[0:1], v[70:71], v[26:27]
	v_mul_f64 v[4:5], v[70:71], v[24:25]
	s_waitcnt lgkmcnt(4)
	v_mul_f64 v[6:7], v[66:67], v[32:33]
	v_mul_f64 v[2:3], v[66:67], v[34:35]
	s_waitcnt lgkmcnt(3)
	v_mul_f64 v[10:11], v[62:63], v[36:37]
	s_mov_b32 s2, 0xe8584caa
	s_mov_b32 s3, 0xbfebb67a
	;; [unrolled: 1-line block ×3, first 2 shown]
	v_fma_f64 v[0:1], v[68:69], v[24:25], v[0:1]
	v_fma_f64 v[4:5], v[68:69], v[26:27], -v[4:5]
	v_fma_f64 v[6:7], v[64:65], v[34:35], -v[6:7]
	v_fma_f64 v[2:3], v[64:65], v[32:33], v[2:3]
	s_mov_b32 s4, s2
	v_mul_f64 v[8:9], v[62:63], v[38:39]
	v_fma_f64 v[10:11], v[60:61], v[38:39], -v[10:11]
	s_waitcnt lgkmcnt(0)
	v_add_f64 v[18:19], v[44:45], v[0:1]
	s_barrier
	v_add_f64 v[22:23], v[4:5], v[6:7]
	v_add_f64 v[14:15], v[0:1], v[2:3]
	v_add_f64 v[0:1], v[0:1], -v[2:3]
	v_mul_f64 v[12:13], v[58:59], v[42:43]
	v_fma_f64 v[8:9], v[60:61], v[36:37], v[8:9]
	v_add_f64 v[24:25], v[18:19], v[2:3]
	v_add_f64 v[20:21], v[4:5], -v[6:7]
	v_fma_f64 v[18:19], v[22:23], -0.5, v[46:47]
	v_fma_f64 v[14:15], v[14:15], -0.5, v[44:45]
	v_add_f64 v[4:5], v[46:47], v[4:5]
	v_mul_f64 v[16:17], v[58:59], v[40:41]
	v_fma_f64 v[12:13], v[56:57], v[40:41], v[12:13]
	v_add_f64 v[2:3], v[136:137], v[8:9]
	v_fma_f64 v[34:35], v[0:1], s[4:5], v[18:19]
	v_fma_f64 v[38:39], v[0:1], s[2:3], v[18:19]
	buffer_load_dword v0, off, s[40:43], 0 offset:104 ; 4-byte Folded Reload
	v_fma_f64 v[32:33], v[20:21], s[2:3], v[14:15]
	v_add_f64 v[26:27], v[8:9], v[12:13]
	v_fma_f64 v[36:37], v[20:21], s[4:5], v[14:15]
	v_fma_f64 v[16:17], v[56:57], v[42:43], -v[16:17]
	v_add_f64 v[8:9], v[8:9], -v[12:13]
	v_add_f64 v[40:41], v[2:3], v[12:13]
	v_fma_f64 v[20:21], v[26:27], -0.5, v[136:137]
	v_add_f64 v[26:27], v[4:5], v[6:7]
	v_add_f64 v[14:15], v[10:11], v[16:17]
	v_add_f64 v[22:23], v[10:11], -v[16:17]
	v_add_f64 v[10:11], v[138:139], v[10:11]
	s_waitcnt vmcnt(0)
	ds_write_b128 v0, v[24:27]
	ds_write_b128 v0, v[32:35] offset:224
	ds_write_b128 v0, v[36:39] offset:448
	buffer_load_dword v0, off, s[40:43], 0 offset:100 ; 4-byte Folded Reload
	v_fma_f64 v[14:15], v[14:15], -0.5, v[138:139]
	v_fma_f64 v[44:45], v[22:23], s[2:3], v[20:21]
	v_fma_f64 v[56:57], v[22:23], s[4:5], v[20:21]
	v_add_f64 v[42:43], v[10:11], v[16:17]
	v_fma_f64 v[46:47], v[8:9], s[4:5], v[14:15]
	v_fma_f64 v[58:59], v[8:9], s[2:3], v[14:15]
	s_waitcnt vmcnt(0)
	ds_write_b128 v0, v[40:43]
	ds_write_b128 v0, v[44:47] offset:224
	ds_write_b128 v0, v[56:59] offset:448
	s_waitcnt lgkmcnt(0)
	s_barrier
	s_and_saveexec_b64 s[2:3], s[0:1]
	s_cbranch_execz .LBB0_15
; %bb.14:
	ds_read_b128 v[24:27], v255
	ds_read_b128 v[32:35], v255 offset:2016
	ds_read_b128 v[36:39], v255 offset:4032
	;; [unrolled: 1-line block ×10, first 2 shown]
.LBB0_15:
	s_or_b64 exec, exec, s[2:3]
	s_waitcnt lgkmcnt(0)
	s_barrier
	s_and_saveexec_b64 s[2:3], s[0:1]
	s_cbranch_execz .LBB0_17
; %bb.16:
	v_mul_f64 v[2:3], v[94:95], v[30:31]
	v_mul_f64 v[4:5], v[98:99], v[56:57]
	;; [unrolled: 1-line block ×8, first 2 shown]
	v_fma_f64 v[28:29], v[92:93], v[28:29], v[2:3]
	v_mul_f64 v[2:3], v[74:75], v[42:43]
	v_fma_f64 v[62:63], v[96:97], v[58:59], -v[4:5]
	v_mul_f64 v[4:5], v[102:103], v[128:129]
	v_fma_f64 v[56:57], v[96:97], v[56:57], v[0:1]
	v_mul_f64 v[0:1], v[90:91], v[132:133]
	v_fma_f64 v[64:65], v[76:77], v[44:45], v[8:9]
	v_fma_f64 v[44:45], v[88:89], v[132:133], v[10:11]
	v_fma_f64 v[68:69], v[76:77], v[46:47], -v[12:13]
	v_fma_f64 v[70:71], v[72:73], v[40:41], v[2:3]
	v_mul_f64 v[2:3], v[74:75], v[40:41]
	v_mul_f64 v[10:11], v[54:55], v[34:35]
	v_mul_f64 v[12:13], v[82:83], v[106:107]
	v_fma_f64 v[46:47], v[100:101], v[128:129], v[14:15]
	v_mul_f64 v[14:15], v[50:51], v[36:37]
	s_mov_b32 s20, 0xfd768dbf
	s_mov_b32 s21, 0xbfd207e7
	;; [unrolled: 1-line block ×3, first 2 shown]
	v_fma_f64 v[74:75], v[72:73], v[42:43], -v[2:3]
	v_fma_f64 v[42:43], v[100:101], v[130:131], -v[4:5]
	v_mul_f64 v[2:3], v[50:51], v[38:39]
	v_mul_f64 v[4:5], v[86:87], v[126:127]
	v_fma_f64 v[10:11], v[52:53], v[32:33], v[10:11]
	v_fma_f64 v[14:15], v[48:49], v[38:39], -v[14:15]
	s_mov_b32 s18, 0x9bcd5057
	s_mov_b32 s27, 0x3fe14ced
	;; [unrolled: 1-line block ×3, first 2 shown]
	v_fma_f64 v[58:59], v[88:89], v[134:135], -v[0:1]
	v_fma_f64 v[90:91], v[48:49], v[36:37], v[2:3]
	v_fma_f64 v[72:73], v[84:85], v[124:125], v[4:5]
	v_mul_f64 v[2:3], v[54:55], v[32:33]
	v_mul_f64 v[4:5], v[82:83], v[104:105]
	v_fma_f64 v[32:33], v[80:81], v[104:105], v[12:13]
	v_mul_f64 v[12:13], v[86:87], v[124:125]
	v_add_f64 v[78:79], v[70:71], -v[46:47]
	s_mov_b32 s14, 0xbb3a28a1
	s_mov_b32 s22, 0x8764f0ba
	v_add_f64 v[16:17], v[90:91], -v[72:73]
	v_fma_f64 v[2:3], v[52:53], v[34:35], -v[2:3]
	v_fma_f64 v[34:35], v[80:81], v[106:107], -v[4:5]
	v_add_f64 v[18:19], v[10:11], -v[32:33]
	v_fma_f64 v[36:37], v[84:85], v[126:127], -v[12:13]
	v_add_f64 v[104:105], v[10:11], v[32:33]
	v_add_f64 v[106:107], v[74:75], -v[42:43]
	v_add_f64 v[124:125], v[90:91], v[72:73]
	v_mul_f64 v[38:39], v[16:17], s[26:27]
	s_mov_b32 s15, 0xbfe82f19
	v_add_f64 v[12:13], v[2:3], -v[34:35]
	v_mul_f64 v[20:21], v[18:19], s[20:21]
	v_add_f64 v[22:23], v[2:3], v[34:35]
	v_add_f64 v[102:103], v[14:15], -v[36:37]
	v_add_f64 v[100:101], v[14:15], v[36:37]
	s_mov_b32 s23, 0x3feaeb8c
	v_add_f64 v[76:77], v[64:65], -v[44:45]
	v_mul_f64 v[8:9], v[78:79], s[14:15]
	v_mul_f64 v[48:49], v[12:13], s[20:21]
	v_add_f64 v[88:89], v[74:75], v[42:43]
	v_fma_f64 v[50:51], v[22:23], s[18:19], v[20:21]
	v_mul_f64 v[52:53], v[102:103], s[26:27]
	v_fma_f64 v[20:21], v[22:23], s[18:19], -v[20:21]
	v_fma_f64 v[80:81], v[100:101], s[22:23], v[38:39]
	v_add_f64 v[126:127], v[68:69], -v[58:59]
	v_add_f64 v[128:129], v[70:71], v[46:47]
	v_fma_f64 v[54:55], v[104:105], s[18:19], -v[48:49]
	v_mul_f64 v[82:83], v[106:107], s[14:15]
	v_add_f64 v[50:51], v[26:27], v[50:51]
	v_fma_f64 v[84:85], v[124:125], s[22:23], -v[52:53]
	v_fma_f64 v[38:39], v[100:101], s[22:23], -v[38:39]
	v_add_f64 v[20:21], v[26:27], v[20:21]
	s_mov_b32 s16, 0x7f775887
	s_mov_b32 s5, 0x3fed1bb4
	v_add_f64 v[54:55], v[24:25], v[54:55]
	s_mov_b32 s4, 0x8eee2c13
	s_mov_b32 s17, 0xbfe4f49e
	v_fma_f64 v[60:61], v[92:93], v[30:31], -v[6:7]
	v_mul_f64 v[6:7], v[76:77], s[4:5]
	v_add_f64 v[40:41], v[68:69], v[58:59]
	v_fma_f64 v[4:5], v[88:89], s[16:17], v[8:9]
	v_add_f64 v[50:51], v[80:81], v[50:51]
	v_add_f64 v[132:133], v[64:65], v[44:45]
	v_mul_f64 v[80:81], v[126:127], s[4:5]
	v_fma_f64 v[86:87], v[128:129], s[16:17], -v[82:83]
	v_add_f64 v[54:55], v[84:85], v[54:55]
	v_fma_f64 v[8:9], v[88:89], s[16:17], -v[8:9]
	v_add_f64 v[20:21], v[38:39], v[20:21]
	s_mov_b32 s12, 0xd9c712b6
	s_mov_b32 s13, 0x3fda9628
	v_fma_f64 v[38:39], v[40:41], s[12:13], v[6:7]
	v_fma_f64 v[84:85], v[132:133], s[12:13], -v[80:81]
	v_fma_f64 v[6:7], v[40:41], s[12:13], -v[6:7]
	v_add_f64 v[54:55], v[86:87], v[54:55]
	v_fma_f64 v[48:49], v[104:105], s[18:19], v[48:49]
	v_add_f64 v[8:9], v[8:9], v[20:21]
	s_mov_b32 s0, 0x43842ef
	s_mov_b32 s1, 0xbfefac9e
	;; [unrolled: 1-line block ×4, first 2 shown]
	v_add_f64 v[66:67], v[56:57], -v[28:29]
	v_add_f64 v[54:55], v[84:85], v[54:55]
	v_add_f64 v[48:49], v[24:25], v[48:49]
	;; [unrolled: 1-line block ×3, first 2 shown]
	v_fma_f64 v[8:9], v[124:125], s[22:23], v[52:53]
	v_mul_f64 v[52:53], v[18:19], s[14:15]
	v_mul_f64 v[84:85], v[12:13], s[14:15]
	v_mul_f64 v[86:87], v[16:17], s[30:31]
	v_mul_f64 v[94:95], v[102:103], s[30:31]
	s_mov_b32 s24, 0x640f44db
	s_mov_b32 s25, 0xbfc2375f
	;; [unrolled: 1-line block ×3, first 2 shown]
	v_add_f64 v[8:9], v[8:9], v[48:49]
	v_fma_f64 v[92:93], v[22:23], s[16:17], v[52:53]
	v_fma_f64 v[48:49], v[104:105], s[16:17], -v[84:85]
	v_fma_f64 v[52:53], v[22:23], s[16:17], -v[52:53]
	s_mov_b32 s28, s26
	v_mul_f64 v[0:1], v[66:67], s[0:1]
	v_add_f64 v[30:31], v[62:63], v[60:61]
	v_add_f64 v[130:131], v[62:63], -v[60:61]
	v_add_f64 v[4:5], v[4:5], v[50:51]
	v_fma_f64 v[82:83], v[128:129], s[16:17], v[82:83]
	v_mul_f64 v[96:97], v[78:79], s[28:29]
	v_fma_f64 v[98:99], v[100:101], s[24:25], v[86:87]
	v_add_f64 v[92:93], v[26:27], v[92:93]
	v_mul_f64 v[136:137], v[106:107], s[28:29]
	v_fma_f64 v[138:139], v[124:125], s[24:25], -v[94:95]
	v_add_f64 v[48:49], v[24:25], v[48:49]
	v_fma_f64 v[86:87], v[100:101], s[24:25], -v[86:87]
	v_add_f64 v[52:53], v[26:27], v[52:53]
	v_add_f64 v[134:135], v[56:57], v[28:29]
	v_mul_f64 v[50:51], v[130:131], s[0:1]
	v_fma_f64 v[20:21], v[30:31], s[24:25], v[0:1]
	v_add_f64 v[4:5], v[38:39], v[4:5]
	v_fma_f64 v[80:81], v[132:133], s[12:13], v[80:81]
	v_add_f64 v[8:9], v[82:83], v[8:9]
	v_mul_f64 v[82:83], v[76:77], s[20:21]
	v_fma_f64 v[140:141], v[88:89], s[22:23], v[96:97]
	v_add_f64 v[92:93], v[98:99], v[92:93]
	v_mul_f64 v[98:99], v[126:127], s[20:21]
	v_fma_f64 v[142:143], v[128:129], s[22:23], -v[136:137]
	v_add_f64 v[48:49], v[138:139], v[48:49]
	v_fma_f64 v[96:97], v[88:89], s[22:23], -v[96:97]
	v_add_f64 v[52:53], v[86:87], v[52:53]
	v_fma_f64 v[38:39], v[134:135], s[24:25], -v[50:51]
	v_fma_f64 v[0:1], v[30:31], s[24:25], -v[0:1]
	v_mul_f64 v[138:139], v[66:67], s[4:5]
	v_fma_f64 v[144:145], v[40:41], s[18:19], v[82:83]
	v_add_f64 v[92:93], v[140:141], v[92:93]
	v_fma_f64 v[146:147], v[132:133], s[18:19], -v[98:99]
	v_add_f64 v[48:49], v[142:143], v[48:49]
	v_fma_f64 v[142:143], v[134:135], s[24:25], v[50:51]
	v_add_f64 v[8:9], v[80:81], v[8:9]
	v_add_f64 v[50:51], v[20:21], v[4:5]
	v_fma_f64 v[4:5], v[40:41], s[18:19], -v[82:83]
	v_add_f64 v[20:21], v[96:97], v[52:53]
	v_mul_f64 v[140:141], v[130:131], s[4:5]
	v_fma_f64 v[80:81], v[30:31], s[12:13], v[138:139]
	v_add_f64 v[86:87], v[144:145], v[92:93]
	v_add_f64 v[144:145], v[146:147], v[48:49]
	;; [unrolled: 1-line block ×5, first 2 shown]
	v_mul_f64 v[0:1], v[18:19], s[0:1]
	v_add_f64 v[4:5], v[4:5], v[20:21]
	v_fma_f64 v[8:9], v[104:105], s[16:17], v[84:85]
	v_mul_f64 v[20:21], v[12:13], s[0:1]
	s_mov_b32 s35, 0x3fd207e7
	s_mov_b32 s34, s20
	v_fma_f64 v[92:93], v[134:135], s[12:13], -v[140:141]
	v_add_f64 v[82:83], v[80:81], v[86:87]
	v_mul_f64 v[38:39], v[16:17], s[34:35]
	v_fma_f64 v[84:85], v[22:23], s[24:25], v[0:1]
	v_fma_f64 v[86:87], v[124:125], s[24:25], v[94:95]
	v_mul_f64 v[96:97], v[102:103], s[34:35]
	v_fma_f64 v[94:95], v[104:105], s[24:25], -v[20:21]
	v_add_f64 v[8:9], v[24:25], v[8:9]
	v_add_f64 v[80:81], v[92:93], v[144:145]
	v_fma_f64 v[6:7], v[30:31], s[12:13], -v[138:139]
	v_fma_f64 v[92:93], v[134:135], s[12:13], v[140:141]
	v_mul_f64 v[138:139], v[78:79], s[4:5]
	v_fma_f64 v[140:141], v[100:101], s[18:19], v[38:39]
	v_add_f64 v[84:85], v[26:27], v[84:85]
	v_fma_f64 v[136:137], v[128:129], s[22:23], v[136:137]
	v_mul_f64 v[142:143], v[106:107], s[4:5]
	v_fma_f64 v[144:145], v[124:125], s[18:19], -v[96:97]
	v_add_f64 v[94:95], v[24:25], v[94:95]
	v_add_f64 v[8:9], v[86:87], v[8:9]
	v_mul_f64 v[146:147], v[76:77], s[28:29]
	v_fma_f64 v[86:87], v[88:89], s[12:13], v[138:139]
	v_add_f64 v[84:85], v[140:141], v[84:85]
	v_fma_f64 v[98:99], v[132:133], s[18:19], v[98:99]
	v_mul_f64 v[140:141], v[126:127], s[28:29]
	v_fma_f64 v[148:149], v[128:129], s[12:13], -v[142:143]
	v_add_f64 v[94:95], v[144:145], v[94:95]
	v_add_f64 v[8:9], v[136:137], v[8:9]
	v_fma_f64 v[0:1], v[22:23], s[24:25], -v[0:1]
	v_mul_f64 v[136:137], v[66:67], s[14:15]
	v_fma_f64 v[144:145], v[40:41], s[22:23], v[146:147]
	v_add_f64 v[84:85], v[86:87], v[84:85]
	v_mul_f64 v[150:151], v[130:131], s[14:15]
	v_fma_f64 v[152:153], v[132:133], s[22:23], -v[140:141]
	v_add_f64 v[94:95], v[148:149], v[94:95]
	v_add_f64 v[8:9], v[98:99], v[8:9]
	v_fma_f64 v[38:39], v[100:101], s[18:19], -v[38:39]
	v_add_f64 v[0:1], v[26:27], v[0:1]
	s_mov_b32 s5, 0xbfed1bb4
	v_add_f64 v[86:87], v[6:7], v[4:5]
	v_fma_f64 v[4:5], v[30:31], s[16:17], v[136:137]
	v_add_f64 v[6:7], v[144:145], v[84:85]
	v_fma_f64 v[98:99], v[134:135], s[16:17], -v[150:151]
	v_add_f64 v[144:145], v[152:153], v[94:95]
	v_add_f64 v[84:85], v[92:93], v[8:9]
	v_mul_f64 v[8:9], v[18:19], s[4:5]
	v_fma_f64 v[138:139], v[88:89], s[12:13], -v[138:139]
	v_fma_f64 v[20:21], v[104:105], s[24:25], v[20:21]
	v_add_f64 v[0:1], v[38:39], v[0:1]
	v_add_f64 v[94:95], v[4:5], v[6:7]
	v_fma_f64 v[4:5], v[40:41], s[22:23], -v[146:147]
	v_add_f64 v[92:93], v[98:99], v[144:145]
	v_mul_f64 v[6:7], v[16:17], s[14:15]
	v_fma_f64 v[38:39], v[22:23], s[12:13], v[8:9]
	v_fma_f64 v[96:97], v[124:125], s[18:19], v[96:97]
	v_add_f64 v[20:21], v[24:25], v[20:21]
	v_add_f64 v[0:1], v[138:139], v[0:1]
	v_fma_f64 v[98:99], v[30:31], s[16:17], -v[136:137]
	v_mul_f64 v[136:137], v[12:13], s[4:5]
	v_mul_f64 v[138:139], v[78:79], s[34:35]
	v_fma_f64 v[144:145], v[100:101], s[16:17], v[6:7]
	v_add_f64 v[38:39], v[26:27], v[38:39]
	v_fma_f64 v[142:143], v[128:129], s[12:13], v[142:143]
	v_add_f64 v[20:21], v[96:97], v[20:21]
	v_add_f64 v[0:1], v[4:5], v[0:1]
	v_mul_f64 v[4:5], v[102:103], s[14:15]
	v_fma_f64 v[96:97], v[104:105], s[12:13], -v[136:137]
	v_fma_f64 v[8:9], v[22:23], s[12:13], -v[8:9]
	v_fma_f64 v[148:149], v[88:89], s[18:19], v[138:139]
	v_add_f64 v[38:39], v[144:145], v[38:39]
	v_fma_f64 v[140:141], v[132:133], s[22:23], v[140:141]
	v_add_f64 v[20:21], v[142:143], v[20:21]
	v_mul_f64 v[142:143], v[106:107], s[34:35]
	v_fma_f64 v[144:145], v[124:125], s[16:17], -v[4:5]
	v_add_f64 v[96:97], v[24:25], v[96:97]
	v_fma_f64 v[6:7], v[100:101], s[16:17], -v[6:7]
	v_add_f64 v[8:9], v[26:27], v[8:9]
	v_mul_f64 v[146:147], v[76:77], s[30:31]
	v_add_f64 v[38:39], v[148:149], v[38:39]
	v_fma_f64 v[148:149], v[134:135], s[16:17], v[150:151]
	v_fma_f64 v[156:157], v[128:129], s[18:19], -v[142:143]
	v_add_f64 v[20:21], v[140:141], v[20:21]
	v_add_f64 v[96:97], v[144:145], v[96:97]
	;; [unrolled: 1-line block ×3, first 2 shown]
	v_fma_f64 v[0:1], v[88:89], s[18:19], -v[138:139]
	v_add_f64 v[6:7], v[6:7], v[8:9]
	v_mul_f64 v[152:153], v[66:67], s[26:27]
	v_fma_f64 v[138:139], v[40:41], s[24:25], -v[146:147]
	v_add_f64 v[2:3], v[26:27], v[2:3]
	v_add_f64 v[10:11], v[24:25], v[10:11]
	;; [unrolled: 1-line block ×4, first 2 shown]
	v_fma_f64 v[20:21], v[104:105], s[12:13], v[136:137]
	v_add_f64 v[0:1], v[0:1], v[6:7]
	v_fma_f64 v[4:5], v[124:125], s[16:17], v[4:5]
	v_fma_f64 v[6:7], v[30:31], s[22:23], -v[152:153]
	v_add_f64 v[2:3], v[2:3], v[14:15]
	v_add_f64 v[10:11], v[10:11], v[90:91]
	v_fma_f64 v[154:155], v[40:41], s[24:25], v[146:147]
	v_fma_f64 v[140:141], v[30:31], s[22:23], v[152:153]
	v_add_f64 v[20:21], v[24:25], v[20:21]
	v_add_f64 v[0:1], v[138:139], v[0:1]
	v_mul_f64 v[18:19], v[18:19], s[28:29]
	v_mul_f64 v[12:13], v[12:13], s[28:29]
	v_add_f64 v[2:3], v[2:3], v[74:75]
	v_mul_f64 v[16:17], v[16:17], s[4:5]
	v_add_f64 v[38:39], v[154:155], v[38:39]
	;; [unrolled: 2-line block ×4, first 2 shown]
	v_add_f64 v[6:7], v[10:11], v[70:71]
	v_add_f64 v[2:3], v[2:3], v[68:69]
	v_fma_f64 v[14:15], v[100:101], s[12:13], v[16:17]
	v_add_f64 v[38:39], v[140:141], v[38:39]
	v_fma_f64 v[140:141], v[22:23], s[22:23], v[18:19]
	v_fma_f64 v[18:19], v[22:23], s[22:23], -v[18:19]
	v_mul_f64 v[22:23], v[102:103], s[4:5]
	v_fma_f64 v[16:17], v[100:101], s[12:13], -v[16:17]
	v_add_f64 v[6:7], v[6:7], v[64:65]
	v_add_f64 v[2:3], v[2:3], v[62:63]
	v_mul_f64 v[62:63], v[106:107], s[0:1]
	v_mul_f64 v[0:1], v[76:77], s[14:15]
	v_add_f64 v[90:91], v[26:27], v[140:141]
	v_add_f64 v[18:19], v[26:27], v[18:19]
	v_fma_f64 v[26:27], v[124:125], s[12:13], v[22:23]
	v_fma_f64 v[22:23], v[124:125], s[12:13], -v[22:23]
	v_add_f64 v[6:7], v[6:7], v[56:57]
	v_fma_f64 v[56:57], v[104:105], s[22:23], v[12:13]
	v_fma_f64 v[12:13], v[104:105], s[22:23], -v[12:13]
	v_add_f64 v[2:3], v[2:3], v[60:61]
	v_fma_f64 v[10:11], v[88:89], s[24:25], v[20:21]
	v_add_f64 v[14:15], v[14:15], v[90:91]
	v_mul_f64 v[64:65], v[126:127], s[14:15]
	v_fma_f64 v[20:21], v[88:89], s[24:25], -v[20:21]
	v_add_f64 v[6:7], v[6:7], v[28:29]
	v_add_f64 v[28:29], v[24:25], v[56:57]
	;; [unrolled: 1-line block ×5, first 2 shown]
	v_fma_f64 v[18:19], v[128:129], s[24:25], v[62:63]
	v_fma_f64 v[142:143], v[128:129], s[18:19], v[142:143]
	v_mul_f64 v[66:67], v[66:67], s[20:21]
	v_add_f64 v[6:7], v[6:7], v[44:45]
	v_add_f64 v[24:25], v[26:27], v[28:29]
	v_fma_f64 v[26:27], v[128:129], s[24:25], -v[62:63]
	v_add_f64 v[12:13], v[22:23], v[12:13]
	v_add_f64 v[2:3], v[2:3], v[42:43]
	v_fma_f64 v[74:75], v[40:41], s[16:17], v[0:1]
	v_add_f64 v[10:11], v[10:11], v[14:15]
	v_mul_f64 v[14:15], v[130:131], s[20:21]
	v_add_f64 v[6:7], v[6:7], v[46:47]
	v_fma_f64 v[0:1], v[40:41], s[16:17], -v[0:1]
	v_add_f64 v[16:17], v[20:21], v[16:17]
	v_fma_f64 v[20:21], v[132:133], s[16:17], v[64:65]
	v_add_f64 v[18:19], v[18:19], v[24:25]
	v_mul_f64 v[144:145], v[130:131], s[26:27]
	v_fma_f64 v[138:139], v[132:133], s[24:25], v[150:151]
	v_add_f64 v[4:5], v[142:143], v[4:5]
	v_fma_f64 v[154:155], v[132:133], s[24:25], -v[150:151]
	v_fma_f64 v[22:23], v[132:133], s[16:17], -v[64:65]
	v_add_f64 v[12:13], v[26:27], v[12:13]
	v_add_f64 v[2:3], v[2:3], v[36:37]
	v_add_f64 v[6:7], v[6:7], v[72:73]
	v_fma_f64 v[24:25], v[30:31], s[18:19], -v[66:67]
	v_add_f64 v[0:1], v[0:1], v[16:17]
	v_fma_f64 v[16:17], v[134:135], s[18:19], v[14:15]
	v_add_f64 v[18:19], v[20:21], v[18:19]
	v_fma_f64 v[70:71], v[134:135], s[22:23], v[144:145]
	v_add_f64 v[4:5], v[138:139], v[4:5]
	v_fma_f64 v[8:9], v[134:135], s[22:23], -v[144:145]
	v_add_f64 v[136:137], v[154:155], v[156:157]
	v_fma_f64 v[20:21], v[30:31], s[18:19], v[66:67]
	v_add_f64 v[10:11], v[74:75], v[10:11]
	v_fma_f64 v[14:15], v[134:135], s[18:19], -v[14:15]
	v_add_f64 v[12:13], v[22:23], v[12:13]
	v_add_f64 v[30:31], v[2:3], v[34:35]
	;; [unrolled: 1-line block ×6, first 2 shown]
	v_mul_u32_u24_e32 v0, 0x1ce, v199
	v_add_lshl_u32 v0, v0, v200, 4
	v_add_f64 v[36:37], v[8:9], v[136:137]
	v_add_f64 v[34:35], v[20:21], v[10:11]
	;; [unrolled: 1-line block ×3, first 2 shown]
	ds_write_b128 v0, v[28:31]
	ds_write_b128 v0, v[24:27] offset:672
	ds_write_b128 v0, v[76:79] offset:1344
	;; [unrolled: 1-line block ×10, first 2 shown]
.LBB0_17:
	s_or_b64 exec, exec, s[2:3]
	s_waitcnt lgkmcnt(0)
	s_barrier
	ds_read_b128 v[24:27], v255 offset:7392
	ds_read_b128 v[28:31], v255 offset:14784
	;; [unrolled: 1-line block ×4, first 2 shown]
	ds_read_b128 v[40:43], v255
	ds_read_b128 v[44:47], v255 offset:3696
	s_waitcnt lgkmcnt(5)
	v_mul_f64 v[0:1], v[110:111], v[26:27]
	s_waitcnt lgkmcnt(4)
	v_mul_f64 v[2:3], v[114:115], v[30:31]
	v_mul_f64 v[4:5], v[110:111], v[24:25]
	;; [unrolled: 1-line block ×3, first 2 shown]
	s_waitcnt lgkmcnt(3)
	v_mul_f64 v[8:9], v[118:119], v[34:35]
	v_mul_f64 v[10:11], v[118:119], v[32:33]
	s_waitcnt lgkmcnt(2)
	v_mul_f64 v[12:13], v[122:123], v[38:39]
	v_mul_f64 v[16:17], v[122:123], v[36:37]
	v_fma_f64 v[0:1], v[108:109], v[24:25], v[0:1]
	v_fma_f64 v[2:3], v[112:113], v[28:29], v[2:3]
	v_fma_f64 v[4:5], v[108:109], v[26:27], -v[4:5]
	v_fma_f64 v[6:7], v[112:113], v[30:31], -v[6:7]
	v_fma_f64 v[8:9], v[116:117], v[32:33], v[8:9]
	v_fma_f64 v[10:11], v[116:117], v[34:35], -v[10:11]
	v_fma_f64 v[12:13], v[120:121], v[36:37], v[12:13]
	v_fma_f64 v[16:17], v[120:121], v[38:39], -v[16:17]
	s_waitcnt lgkmcnt(1)
	v_add_f64 v[18:19], v[40:41], v[0:1]
	v_add_f64 v[14:15], v[0:1], v[2:3]
	s_mov_b32 s0, 0xe8584caa
	v_add_f64 v[20:21], v[4:5], -v[6:7]
	v_add_f64 v[22:23], v[4:5], v[6:7]
	s_mov_b32 s1, 0xbfebb67a
	s_mov_b32 s3, 0x3febb67a
	;; [unrolled: 1-line block ×3, first 2 shown]
	v_add_f64 v[26:27], v[8:9], v[12:13]
	v_fma_f64 v[14:15], v[14:15], -0.5, v[40:41]
	v_add_f64 v[4:5], v[42:43], v[4:5]
	v_add_f64 v[24:25], v[18:19], v[2:3]
	v_fma_f64 v[18:19], v[22:23], -0.5, v[42:43]
	v_add_f64 v[0:1], v[0:1], -v[2:3]
	s_waitcnt lgkmcnt(0)
	v_add_f64 v[2:3], v[44:45], v[8:9]
	v_add_f64 v[22:23], v[10:11], -v[16:17]
	v_add_f64 v[8:9], v[8:9], -v[12:13]
	v_fma_f64 v[28:29], v[20:21], s[0:1], v[14:15]
	v_fma_f64 v[32:33], v[20:21], s[2:3], v[14:15]
	v_add_f64 v[14:15], v[10:11], v[16:17]
	v_add_f64 v[10:11], v[46:47], v[10:11]
	v_fma_f64 v[20:21], v[26:27], -0.5, v[44:45]
	v_add_f64 v[26:27], v[4:5], v[6:7]
	v_fma_f64 v[30:31], v[0:1], s[2:3], v[18:19]
	v_fma_f64 v[34:35], v[0:1], s[0:1], v[18:19]
	v_add_f64 v[36:37], v[2:3], v[12:13]
	s_mul_i32 s5, s8, 0x2b50
	v_fma_f64 v[14:15], v[14:15], -0.5, v[46:47]
	v_add_f64 v[38:39], v[10:11], v[16:17]
	v_fma_f64 v[40:41], v[22:23], s[0:1], v[20:21]
	v_fma_f64 v[44:45], v[22:23], s[2:3], v[20:21]
	v_mov_b32_e32 v18, 0xffffe320
	v_fma_f64 v[42:43], v[8:9], s[2:3], v[14:15]
	v_fma_f64 v[46:47], v[8:9], s[0:1], v[14:15]
	ds_write_b128 v255, v[24:27]
	ds_write_b128 v255, v[28:31] offset:7392
	ds_write_b128 v255, v[32:35] offset:14784
	;; [unrolled: 1-line block ×5, first 2 shown]
	s_waitcnt lgkmcnt(0)
	s_barrier
	ds_read_b128 v[24:27], v255
	ds_read_b128 v[28:31], v255 offset:3696
	buffer_load_dword v9, off, s[40:43], 0 offset:80 ; 4-byte Folded Reload
	buffer_load_dword v10, off, s[40:43], 0 offset:84 ; 4-byte Folded Reload
	;; [unrolled: 1-line block ×4, first 2 shown]
	v_mad_u64_u32 v[0:1], s[0:1], s10, v197, 0
	ds_read_b128 v[20:23], v255 offset:11088
	ds_read_b128 v[32:35], v255 offset:7392
	v_mad_u64_u32 v[7:8], s[0:1], s8, v198, 0
	s_waitcnt vmcnt(0) lgkmcnt(3)
	v_mul_f64 v[2:3], v[11:12], v[26:27]
	v_mad_u64_u32 v[4:5], s[0:1], s11, v197, v[1:2]
	v_mul_f64 v[5:6], v[11:12], v[24:25]
	buffer_load_dword v11, off, s[40:43], 0 ; 4-byte Folded Reload
	buffer_load_dword v12, off, s[40:43], 0 offset:4 ; 4-byte Folded Reload
	buffer_load_dword v13, off, s[40:43], 0 offset:8 ; 4-byte Folded Reload
	;; [unrolled: 1-line block ×3, first 2 shown]
	v_fma_f64 v[2:3], v[9:10], v[24:25], v[2:3]
	v_mov_b32_e32 v1, v4
	s_mov_b32 s0, 0x5e918c
	s_mov_b32 s1, 0x3f47a463
	v_lshlrev_b64 v[0:1], 4, v[0:1]
	v_fma_f64 v[4:5], v[9:10], v[26:27], -v[5:6]
	v_mov_b32_e32 v6, v8
	v_mul_f64 v[24:25], v[2:3], s[0:1]
	v_mad_u64_u32 v[8:9], s[2:3], s9, v198, v[6:7]
	v_mov_b32_e32 v6, s7
	v_add_co_u32_e32 v9, vcc, s6, v0
	v_mul_f64 v[26:27], v[4:5], s[0:1]
	v_addc_co_u32_e32 v10, vcc, v6, v1, vcc
	s_mul_i32 s2, s9, 0x2b50
	s_mul_hi_u32 s3, s8, 0x2b50
	s_add_i32 s4, s3, s2
	v_mov_b32_e32 v19, s4
	s_waitcnt vmcnt(0) lgkmcnt(1)
	v_mul_f64 v[2:3], v[13:14], v[22:23]
	v_mul_f64 v[4:5], v[13:14], v[20:21]
	v_fma_f64 v[0:1], v[11:12], v[20:21], v[2:3]
	v_lshlrev_b64 v[2:3], 4, v[7:8]
	v_fma_f64 v[4:5], v[11:12], v[22:23], -v[4:5]
	v_add_co_u32_e32 v6, vcc, v9, v2
	v_addc_co_u32_e32 v7, vcc, v10, v3, vcc
	global_store_dwordx4 v[6:7], v[24:27], off
	buffer_load_dword v13, off, s[40:43], 0 offset:16 ; 4-byte Folded Reload
	buffer_load_dword v14, off, s[40:43], 0 offset:20 ; 4-byte Folded Reload
	;; [unrolled: 1-line block ×4, first 2 shown]
	v_mul_f64 v[0:1], v[0:1], s[0:1]
	v_mul_f64 v[2:3], v[4:5], s[0:1]
	v_mov_b32_e32 v12, s4
	ds_read_b128 v[20:23], v255 offset:18480
	s_waitcnt vmcnt(0)
	v_mul_f64 v[8:9], v[15:16], v[30:31]
	v_mul_f64 v[10:11], v[15:16], v[28:29]
	v_fma_f64 v[4:5], v[13:14], v[28:29], v[8:9]
	v_fma_f64 v[8:9], v[13:14], v[30:31], -v[10:11]
	v_add_co_u32_e32 v10, vcc, s5, v6
	v_addc_co_u32_e32 v11, vcc, v7, v12, vcc
	global_store_dwordx4 v[10:11], v[0:3], off
	ds_read_b128 v[0:3], v255 offset:14784
	buffer_load_dword v24, off, s[40:43], 0 offset:32 ; 4-byte Folded Reload
	buffer_load_dword v25, off, s[40:43], 0 offset:36 ; 4-byte Folded Reload
	buffer_load_dword v26, off, s[40:43], 0 offset:40 ; 4-byte Folded Reload
	buffer_load_dword v27, off, s[40:43], 0 offset:44 ; 4-byte Folded Reload
	v_mul_f64 v[6:7], v[8:9], s[0:1]
	v_mul_f64 v[4:5], v[4:5], s[0:1]
	v_mad_u64_u32 v[10:11], s[2:3], s8, v18, v[10:11]
	s_mul_i32 s2, s9, 0xffffe320
	s_sub_i32 s6, s2, s8
	v_add_u32_e32 v11, s6, v11
	s_waitcnt vmcnt(0) lgkmcnt(0)
	v_mul_f64 v[8:9], v[26:27], v[2:3]
	v_mul_f64 v[12:13], v[26:27], v[0:1]
	buffer_load_dword v26, off, s[40:43], 0 offset:48 ; 4-byte Folded Reload
	buffer_load_dword v27, off, s[40:43], 0 offset:52 ; 4-byte Folded Reload
	;; [unrolled: 1-line block ×4, first 2 shown]
	v_fma_f64 v[0:1], v[24:25], v[0:1], v[8:9]
	v_fma_f64 v[2:3], v[24:25], v[2:3], -v[12:13]
	v_mul_f64 v[0:1], v[0:1], s[0:1]
	v_mul_f64 v[2:3], v[2:3], s[0:1]
	s_waitcnt vmcnt(0)
	v_mul_f64 v[14:15], v[28:29], v[34:35]
	v_mul_f64 v[16:17], v[28:29], v[32:33]
	v_fma_f64 v[8:9], v[26:27], v[32:33], v[14:15]
	v_fma_f64 v[12:13], v[26:27], v[34:35], -v[16:17]
	buffer_load_dword v24, off, s[40:43], 0 offset:64 ; 4-byte Folded Reload
	buffer_load_dword v25, off, s[40:43], 0 offset:68 ; 4-byte Folded Reload
	;; [unrolled: 1-line block ×4, first 2 shown]
	s_waitcnt vmcnt(0)
	v_mul_f64 v[14:15], v[26:27], v[22:23]
	v_mul_f64 v[16:17], v[26:27], v[20:21]
	global_store_dwordx4 v[10:11], v[4:7], off
	v_add_co_u32_e32 v10, vcc, s5, v10
	v_mul_f64 v[4:5], v[8:9], s[0:1]
	v_mul_f64 v[6:7], v[12:13], s[0:1]
	v_addc_co_u32_e32 v11, vcc, v11, v19, vcc
	v_fma_f64 v[8:9], v[24:25], v[20:21], v[14:15]
	v_fma_f64 v[12:13], v[24:25], v[22:23], -v[16:17]
	global_store_dwordx4 v[10:11], v[0:3], off
	v_mad_u64_u32 v[14:15], s[2:3], s8, v18, v[10:11]
	v_add_u32_e32 v15, s6, v15
	v_mul_f64 v[0:1], v[8:9], s[0:1]
	v_mul_f64 v[2:3], v[12:13], s[0:1]
	global_store_dwordx4 v[14:15], v[4:7], off
	s_nop 0
	v_mov_b32_e32 v5, s4
	v_add_co_u32_e32 v4, vcc, s5, v14
	v_addc_co_u32_e32 v5, vcc, v15, v5, vcc
	global_store_dwordx4 v[4:5], v[0:3], off
.LBB0_18:
	s_endpgm
	.section	.rodata,"a",@progbits
	.p2align	6, 0x0
	.amdhsa_kernel bluestein_single_back_len1386_dim1_dp_op_CI_CI
		.amdhsa_group_segment_fixed_size 22176
		.amdhsa_private_segment_fixed_size 428
		.amdhsa_kernarg_size 104
		.amdhsa_user_sgpr_count 6
		.amdhsa_user_sgpr_private_segment_buffer 1
		.amdhsa_user_sgpr_dispatch_ptr 0
		.amdhsa_user_sgpr_queue_ptr 0
		.amdhsa_user_sgpr_kernarg_segment_ptr 1
		.amdhsa_user_sgpr_dispatch_id 0
		.amdhsa_user_sgpr_flat_scratch_init 0
		.amdhsa_user_sgpr_private_segment_size 0
		.amdhsa_uses_dynamic_stack 0
		.amdhsa_system_sgpr_private_segment_wavefront_offset 1
		.amdhsa_system_sgpr_workgroup_id_x 1
		.amdhsa_system_sgpr_workgroup_id_y 0
		.amdhsa_system_sgpr_workgroup_id_z 0
		.amdhsa_system_sgpr_workgroup_info 0
		.amdhsa_system_vgpr_workitem_id 0
		.amdhsa_next_free_vgpr 256
		.amdhsa_next_free_sgpr 44
		.amdhsa_reserve_vcc 1
		.amdhsa_reserve_flat_scratch 0
		.amdhsa_float_round_mode_32 0
		.amdhsa_float_round_mode_16_64 0
		.amdhsa_float_denorm_mode_32 3
		.amdhsa_float_denorm_mode_16_64 3
		.amdhsa_dx10_clamp 1
		.amdhsa_ieee_mode 1
		.amdhsa_fp16_overflow 0
		.amdhsa_exception_fp_ieee_invalid_op 0
		.amdhsa_exception_fp_denorm_src 0
		.amdhsa_exception_fp_ieee_div_zero 0
		.amdhsa_exception_fp_ieee_overflow 0
		.amdhsa_exception_fp_ieee_underflow 0
		.amdhsa_exception_fp_ieee_inexact 0
		.amdhsa_exception_int_div_zero 0
	.end_amdhsa_kernel
	.text
.Lfunc_end0:
	.size	bluestein_single_back_len1386_dim1_dp_op_CI_CI, .Lfunc_end0-bluestein_single_back_len1386_dim1_dp_op_CI_CI
                                        ; -- End function
	.section	.AMDGPU.csdata,"",@progbits
; Kernel info:
; codeLenInByte = 15764
; NumSgprs: 48
; NumVgprs: 256
; ScratchSize: 428
; MemoryBound: 0
; FloatMode: 240
; IeeeMode: 1
; LDSByteSize: 22176 bytes/workgroup (compile time only)
; SGPRBlocks: 5
; VGPRBlocks: 63
; NumSGPRsForWavesPerEU: 48
; NumVGPRsForWavesPerEU: 256
; Occupancy: 1
; WaveLimiterHint : 1
; COMPUTE_PGM_RSRC2:SCRATCH_EN: 1
; COMPUTE_PGM_RSRC2:USER_SGPR: 6
; COMPUTE_PGM_RSRC2:TRAP_HANDLER: 0
; COMPUTE_PGM_RSRC2:TGID_X_EN: 1
; COMPUTE_PGM_RSRC2:TGID_Y_EN: 0
; COMPUTE_PGM_RSRC2:TGID_Z_EN: 0
; COMPUTE_PGM_RSRC2:TIDIG_COMP_CNT: 0
	.type	__hip_cuid_63c549ca8abdff3e,@object ; @__hip_cuid_63c549ca8abdff3e
	.section	.bss,"aw",@nobits
	.globl	__hip_cuid_63c549ca8abdff3e
__hip_cuid_63c549ca8abdff3e:
	.byte	0                               ; 0x0
	.size	__hip_cuid_63c549ca8abdff3e, 1

	.ident	"AMD clang version 19.0.0git (https://github.com/RadeonOpenCompute/llvm-project roc-6.4.0 25133 c7fe45cf4b819c5991fe208aaa96edf142730f1d)"
	.section	".note.GNU-stack","",@progbits
	.addrsig
	.addrsig_sym __hip_cuid_63c549ca8abdff3e
	.amdgpu_metadata
---
amdhsa.kernels:
  - .args:
      - .actual_access:  read_only
        .address_space:  global
        .offset:         0
        .size:           8
        .value_kind:     global_buffer
      - .actual_access:  read_only
        .address_space:  global
        .offset:         8
        .size:           8
        .value_kind:     global_buffer
      - .actual_access:  read_only
        .address_space:  global
        .offset:         16
        .size:           8
        .value_kind:     global_buffer
      - .actual_access:  read_only
        .address_space:  global
        .offset:         24
        .size:           8
        .value_kind:     global_buffer
      - .actual_access:  read_only
        .address_space:  global
        .offset:         32
        .size:           8
        .value_kind:     global_buffer
      - .offset:         40
        .size:           8
        .value_kind:     by_value
      - .address_space:  global
        .offset:         48
        .size:           8
        .value_kind:     global_buffer
      - .address_space:  global
        .offset:         56
        .size:           8
        .value_kind:     global_buffer
      - .address_space:  global
        .offset:         64
        .size:           8
        .value_kind:     global_buffer
      - .address_space:  global
        .offset:         72
        .size:           8
        .value_kind:     global_buffer
      - .offset:         80
        .size:           4
        .value_kind:     by_value
      - .address_space:  global
        .offset:         88
        .size:           8
        .value_kind:     global_buffer
      - .address_space:  global
        .offset:         96
        .size:           8
        .value_kind:     global_buffer
    .group_segment_fixed_size: 22176
    .kernarg_segment_align: 8
    .kernarg_segment_size: 104
    .language:       OpenCL C
    .language_version:
      - 2
      - 0
    .max_flat_workgroup_size: 231
    .name:           bluestein_single_back_len1386_dim1_dp_op_CI_CI
    .private_segment_fixed_size: 428
    .sgpr_count:     48
    .sgpr_spill_count: 0
    .symbol:         bluestein_single_back_len1386_dim1_dp_op_CI_CI.kd
    .uniform_work_group_size: 1
    .uses_dynamic_stack: false
    .vgpr_count:     256
    .vgpr_spill_count: 106
    .wavefront_size: 64
amdhsa.target:   amdgcn-amd-amdhsa--gfx906
amdhsa.version:
  - 1
  - 2
...

	.end_amdgpu_metadata
